;; amdgpu-corpus repo=ROCm/rocFFT kind=compiled arch=gfx1201 opt=O3
	.text
	.amdgcn_target "amdgcn-amd-amdhsa--gfx1201"
	.amdhsa_code_object_version 6
	.protected	fft_rtc_fwd_len1734_factors_17_17_6_wgs_102_tpt_102_halfLds_dp_ip_CI_unitstride_sbrr_R2C_dirReg ; -- Begin function fft_rtc_fwd_len1734_factors_17_17_6_wgs_102_tpt_102_halfLds_dp_ip_CI_unitstride_sbrr_R2C_dirReg
	.globl	fft_rtc_fwd_len1734_factors_17_17_6_wgs_102_tpt_102_halfLds_dp_ip_CI_unitstride_sbrr_R2C_dirReg
	.p2align	8
	.type	fft_rtc_fwd_len1734_factors_17_17_6_wgs_102_tpt_102_halfLds_dp_ip_CI_unitstride_sbrr_R2C_dirReg,@function
fft_rtc_fwd_len1734_factors_17_17_6_wgs_102_tpt_102_halfLds_dp_ip_CI_unitstride_sbrr_R2C_dirReg: ; @fft_rtc_fwd_len1734_factors_17_17_6_wgs_102_tpt_102_halfLds_dp_ip_CI_unitstride_sbrr_R2C_dirReg
; %bb.0:
	s_clause 0x2
	s_load_b128 s[4:7], s[0:1], 0x0
	s_load_b64 s[8:9], s[0:1], 0x50
	s_load_b64 s[10:11], s[0:1], 0x18
	v_mul_u32_u24_e32 v1, 0x283, v0
	v_mov_b32_e32 v3, 0
	s_delay_alu instid0(VALU_DEP_2) | instskip(NEXT) | instid1(VALU_DEP_1)
	v_lshrrev_b32_e32 v1, 16, v1
	v_add_nc_u32_e32 v5, ttmp9, v1
	v_mov_b32_e32 v1, 0
	v_mov_b32_e32 v2, 0
	;; [unrolled: 1-line block ×3, first 2 shown]
	s_wait_kmcnt 0x0
	v_cmp_lt_u64_e64 s2, s[6:7], 2
	s_delay_alu instid0(VALU_DEP_1)
	s_and_b32 vcc_lo, exec_lo, s2
	s_cbranch_vccnz .LBB0_8
; %bb.1:
	s_load_b64 s[2:3], s[0:1], 0x10
	v_mov_b32_e32 v1, 0
	v_mov_b32_e32 v2, 0
	s_add_nc_u64 s[12:13], s[10:11], 8
	s_mov_b64 s[14:15], 1
	s_wait_kmcnt 0x0
	s_add_nc_u64 s[16:17], s[2:3], 8
	s_mov_b32 s3, 0
.LBB0_2:                                ; =>This Inner Loop Header: Depth=1
	s_load_b64 s[18:19], s[16:17], 0x0
                                        ; implicit-def: $vgpr7_vgpr8
	s_mov_b32 s2, exec_lo
	s_wait_kmcnt 0x0
	v_or_b32_e32 v4, s19, v6
	s_delay_alu instid0(VALU_DEP_1)
	v_cmpx_ne_u64_e32 0, v[3:4]
	s_wait_alu 0xfffe
	s_xor_b32 s20, exec_lo, s2
	s_cbranch_execz .LBB0_4
; %bb.3:                                ;   in Loop: Header=BB0_2 Depth=1
	s_cvt_f32_u32 s2, s18
	s_cvt_f32_u32 s21, s19
	s_sub_nc_u64 s[24:25], 0, s[18:19]
	s_wait_alu 0xfffe
	s_delay_alu instid0(SALU_CYCLE_1) | instskip(SKIP_1) | instid1(SALU_CYCLE_2)
	s_fmamk_f32 s2, s21, 0x4f800000, s2
	s_wait_alu 0xfffe
	v_s_rcp_f32 s2, s2
	s_delay_alu instid0(TRANS32_DEP_1) | instskip(SKIP_1) | instid1(SALU_CYCLE_2)
	s_mul_f32 s2, s2, 0x5f7ffffc
	s_wait_alu 0xfffe
	s_mul_f32 s21, s2, 0x2f800000
	s_wait_alu 0xfffe
	s_delay_alu instid0(SALU_CYCLE_2) | instskip(SKIP_1) | instid1(SALU_CYCLE_2)
	s_trunc_f32 s21, s21
	s_wait_alu 0xfffe
	s_fmamk_f32 s2, s21, 0xcf800000, s2
	s_cvt_u32_f32 s23, s21
	s_wait_alu 0xfffe
	s_delay_alu instid0(SALU_CYCLE_1) | instskip(SKIP_1) | instid1(SALU_CYCLE_2)
	s_cvt_u32_f32 s22, s2
	s_wait_alu 0xfffe
	s_mul_u64 s[26:27], s[24:25], s[22:23]
	s_wait_alu 0xfffe
	s_mul_hi_u32 s29, s22, s27
	s_mul_i32 s28, s22, s27
	s_mul_hi_u32 s2, s22, s26
	s_mul_i32 s30, s23, s26
	s_wait_alu 0xfffe
	s_add_nc_u64 s[28:29], s[2:3], s[28:29]
	s_mul_hi_u32 s21, s23, s26
	s_mul_hi_u32 s31, s23, s27
	s_add_co_u32 s2, s28, s30
	s_wait_alu 0xfffe
	s_add_co_ci_u32 s2, s29, s21
	s_mul_i32 s26, s23, s27
	s_add_co_ci_u32 s27, s31, 0
	s_wait_alu 0xfffe
	s_add_nc_u64 s[26:27], s[2:3], s[26:27]
	s_wait_alu 0xfffe
	v_add_co_u32 v4, s2, s22, s26
	s_delay_alu instid0(VALU_DEP_1) | instskip(SKIP_1) | instid1(VALU_DEP_1)
	s_cmp_lg_u32 s2, 0
	s_add_co_ci_u32 s23, s23, s27
	v_readfirstlane_b32 s22, v4
	s_wait_alu 0xfffe
	s_delay_alu instid0(VALU_DEP_1)
	s_mul_u64 s[24:25], s[24:25], s[22:23]
	s_wait_alu 0xfffe
	s_mul_hi_u32 s27, s22, s25
	s_mul_i32 s26, s22, s25
	s_mul_hi_u32 s2, s22, s24
	s_mul_i32 s28, s23, s24
	s_wait_alu 0xfffe
	s_add_nc_u64 s[26:27], s[2:3], s[26:27]
	s_mul_hi_u32 s21, s23, s24
	s_mul_hi_u32 s22, s23, s25
	s_wait_alu 0xfffe
	s_add_co_u32 s2, s26, s28
	s_add_co_ci_u32 s2, s27, s21
	s_mul_i32 s24, s23, s25
	s_add_co_ci_u32 s25, s22, 0
	s_wait_alu 0xfffe
	s_add_nc_u64 s[24:25], s[2:3], s[24:25]
	s_wait_alu 0xfffe
	v_add_co_u32 v4, s2, v4, s24
	s_delay_alu instid0(VALU_DEP_1) | instskip(SKIP_1) | instid1(VALU_DEP_1)
	s_cmp_lg_u32 s2, 0
	s_add_co_ci_u32 s2, s23, s25
	v_mul_hi_u32 v13, v5, v4
	s_wait_alu 0xfffe
	v_mad_co_u64_u32 v[7:8], null, v5, s2, 0
	v_mad_co_u64_u32 v[9:10], null, v6, v4, 0
	;; [unrolled: 1-line block ×3, first 2 shown]
	s_delay_alu instid0(VALU_DEP_3) | instskip(SKIP_1) | instid1(VALU_DEP_4)
	v_add_co_u32 v4, vcc_lo, v13, v7
	s_wait_alu 0xfffd
	v_add_co_ci_u32_e32 v7, vcc_lo, 0, v8, vcc_lo
	s_delay_alu instid0(VALU_DEP_2) | instskip(SKIP_1) | instid1(VALU_DEP_2)
	v_add_co_u32 v4, vcc_lo, v4, v9
	s_wait_alu 0xfffd
	v_add_co_ci_u32_e32 v4, vcc_lo, v7, v10, vcc_lo
	s_wait_alu 0xfffd
	v_add_co_ci_u32_e32 v7, vcc_lo, 0, v12, vcc_lo
	s_delay_alu instid0(VALU_DEP_2) | instskip(SKIP_1) | instid1(VALU_DEP_2)
	v_add_co_u32 v4, vcc_lo, v4, v11
	s_wait_alu 0xfffd
	v_add_co_ci_u32_e32 v9, vcc_lo, 0, v7, vcc_lo
	s_delay_alu instid0(VALU_DEP_2) | instskip(SKIP_1) | instid1(VALU_DEP_3)
	v_mul_lo_u32 v10, s19, v4
	v_mad_co_u64_u32 v[7:8], null, s18, v4, 0
	v_mul_lo_u32 v11, s18, v9
	s_delay_alu instid0(VALU_DEP_2) | instskip(NEXT) | instid1(VALU_DEP_2)
	v_sub_co_u32 v7, vcc_lo, v5, v7
	v_add3_u32 v8, v8, v11, v10
	s_delay_alu instid0(VALU_DEP_1) | instskip(SKIP_1) | instid1(VALU_DEP_1)
	v_sub_nc_u32_e32 v10, v6, v8
	s_wait_alu 0xfffd
	v_subrev_co_ci_u32_e64 v10, s2, s19, v10, vcc_lo
	v_add_co_u32 v11, s2, v4, 2
	s_wait_alu 0xf1ff
	v_add_co_ci_u32_e64 v12, s2, 0, v9, s2
	v_sub_co_u32 v13, s2, v7, s18
	v_sub_co_ci_u32_e32 v8, vcc_lo, v6, v8, vcc_lo
	s_wait_alu 0xf1ff
	v_subrev_co_ci_u32_e64 v10, s2, 0, v10, s2
	s_delay_alu instid0(VALU_DEP_3) | instskip(NEXT) | instid1(VALU_DEP_3)
	v_cmp_le_u32_e32 vcc_lo, s18, v13
	v_cmp_eq_u32_e64 s2, s19, v8
	s_wait_alu 0xfffd
	v_cndmask_b32_e64 v13, 0, -1, vcc_lo
	v_cmp_le_u32_e32 vcc_lo, s19, v10
	s_wait_alu 0xfffd
	v_cndmask_b32_e64 v14, 0, -1, vcc_lo
	v_cmp_le_u32_e32 vcc_lo, s18, v7
	;; [unrolled: 3-line block ×3, first 2 shown]
	s_wait_alu 0xfffd
	v_cndmask_b32_e64 v15, 0, -1, vcc_lo
	v_cmp_eq_u32_e32 vcc_lo, s19, v10
	s_wait_alu 0xf1ff
	s_delay_alu instid0(VALU_DEP_2)
	v_cndmask_b32_e64 v7, v15, v7, s2
	s_wait_alu 0xfffd
	v_cndmask_b32_e32 v10, v14, v13, vcc_lo
	v_add_co_u32 v13, vcc_lo, v4, 1
	s_wait_alu 0xfffd
	v_add_co_ci_u32_e32 v14, vcc_lo, 0, v9, vcc_lo
	s_delay_alu instid0(VALU_DEP_3) | instskip(SKIP_2) | instid1(VALU_DEP_3)
	v_cmp_ne_u32_e32 vcc_lo, 0, v10
	s_wait_alu 0xfffd
	v_cndmask_b32_e32 v10, v13, v11, vcc_lo
	v_cndmask_b32_e32 v8, v14, v12, vcc_lo
	v_cmp_ne_u32_e32 vcc_lo, 0, v7
	s_wait_alu 0xfffd
	s_delay_alu instid0(VALU_DEP_2)
	v_dual_cndmask_b32 v7, v4, v10 :: v_dual_cndmask_b32 v8, v9, v8
.LBB0_4:                                ;   in Loop: Header=BB0_2 Depth=1
	s_wait_alu 0xfffe
	s_and_not1_saveexec_b32 s2, s20
	s_cbranch_execz .LBB0_6
; %bb.5:                                ;   in Loop: Header=BB0_2 Depth=1
	v_cvt_f32_u32_e32 v4, s18
	s_sub_co_i32 s20, 0, s18
	s_delay_alu instid0(VALU_DEP_1) | instskip(NEXT) | instid1(TRANS32_DEP_1)
	v_rcp_iflag_f32_e32 v4, v4
	v_mul_f32_e32 v4, 0x4f7ffffe, v4
	s_delay_alu instid0(VALU_DEP_1) | instskip(SKIP_1) | instid1(VALU_DEP_1)
	v_cvt_u32_f32_e32 v4, v4
	s_wait_alu 0xfffe
	v_mul_lo_u32 v7, s20, v4
	s_delay_alu instid0(VALU_DEP_1) | instskip(NEXT) | instid1(VALU_DEP_1)
	v_mul_hi_u32 v7, v4, v7
	v_add_nc_u32_e32 v4, v4, v7
	s_delay_alu instid0(VALU_DEP_1) | instskip(NEXT) | instid1(VALU_DEP_1)
	v_mul_hi_u32 v4, v5, v4
	v_mul_lo_u32 v7, v4, s18
	v_add_nc_u32_e32 v8, 1, v4
	s_delay_alu instid0(VALU_DEP_2) | instskip(NEXT) | instid1(VALU_DEP_1)
	v_sub_nc_u32_e32 v7, v5, v7
	v_subrev_nc_u32_e32 v9, s18, v7
	v_cmp_le_u32_e32 vcc_lo, s18, v7
	s_wait_alu 0xfffd
	s_delay_alu instid0(VALU_DEP_2) | instskip(NEXT) | instid1(VALU_DEP_1)
	v_dual_cndmask_b32 v7, v7, v9 :: v_dual_cndmask_b32 v4, v4, v8
	v_cmp_le_u32_e32 vcc_lo, s18, v7
	s_delay_alu instid0(VALU_DEP_2) | instskip(SKIP_1) | instid1(VALU_DEP_1)
	v_add_nc_u32_e32 v8, 1, v4
	s_wait_alu 0xfffd
	v_dual_cndmask_b32 v7, v4, v8 :: v_dual_mov_b32 v8, v3
.LBB0_6:                                ;   in Loop: Header=BB0_2 Depth=1
	s_wait_alu 0xfffe
	s_or_b32 exec_lo, exec_lo, s2
	s_load_b64 s[20:21], s[12:13], 0x0
	s_delay_alu instid0(VALU_DEP_1)
	v_mul_lo_u32 v4, v8, s18
	v_mul_lo_u32 v11, v7, s19
	v_mad_co_u64_u32 v[9:10], null, v7, s18, 0
	s_add_nc_u64 s[14:15], s[14:15], 1
	s_add_nc_u64 s[12:13], s[12:13], 8
	s_wait_alu 0xfffe
	v_cmp_ge_u64_e64 s2, s[14:15], s[6:7]
	s_add_nc_u64 s[16:17], s[16:17], 8
	s_delay_alu instid0(VALU_DEP_2) | instskip(NEXT) | instid1(VALU_DEP_3)
	v_add3_u32 v4, v10, v11, v4
	v_sub_co_u32 v5, vcc_lo, v5, v9
	s_wait_alu 0xfffd
	s_delay_alu instid0(VALU_DEP_2) | instskip(SKIP_3) | instid1(VALU_DEP_2)
	v_sub_co_ci_u32_e32 v4, vcc_lo, v6, v4, vcc_lo
	s_and_b32 vcc_lo, exec_lo, s2
	s_wait_kmcnt 0x0
	v_mul_lo_u32 v6, s21, v5
	v_mul_lo_u32 v4, s20, v4
	v_mad_co_u64_u32 v[1:2], null, s20, v5, v[1:2]
	s_delay_alu instid0(VALU_DEP_1)
	v_add3_u32 v2, v6, v2, v4
	s_wait_alu 0xfffe
	s_cbranch_vccnz .LBB0_9
; %bb.7:                                ;   in Loop: Header=BB0_2 Depth=1
	v_dual_mov_b32 v5, v7 :: v_dual_mov_b32 v6, v8
	s_branch .LBB0_2
.LBB0_8:
	v_dual_mov_b32 v8, v6 :: v_dual_mov_b32 v7, v5
.LBB0_9:
	s_lshl_b64 s[2:3], s[6:7], 3
	v_mul_hi_u32 v3, 0x2828283, v0
	s_wait_alu 0xfffe
	s_add_nc_u64 s[2:3], s[10:11], s[2:3]
	s_load_b64 s[2:3], s[2:3], 0x0
	s_load_b64 s[0:1], s[0:1], 0x20
	s_delay_alu instid0(VALU_DEP_1) | instskip(NEXT) | instid1(VALU_DEP_1)
	v_mul_u32_u24_e32 v3, 0x66, v3
	v_sub_nc_u32_e32 v72, v0, v3
	s_delay_alu instid0(VALU_DEP_1)
	v_add_nc_u32_e32 v77, 0x66, v72
	v_add_nc_u32_e32 v0, 0xcc, v72
	s_wait_kmcnt 0x0
	v_mul_lo_u32 v4, s2, v8
	v_mul_lo_u32 v5, s3, v7
	v_mad_co_u64_u32 v[1:2], null, s2, v7, v[1:2]
	v_cmp_gt_u64_e32 vcc_lo, s[0:1], v[7:8]
	v_cmp_le_u64_e64 s0, s[0:1], v[7:8]
	s_delay_alu instid0(VALU_DEP_3) | instskip(NEXT) | instid1(VALU_DEP_2)
	v_add3_u32 v2, v5, v2, v4
	s_and_saveexec_b32 s1, s0
	s_wait_alu 0xfffe
	s_xor_b32 s0, exec_lo, s1
; %bb.10:
	v_add_nc_u32_e32 v77, 0x66, v72
	v_add_nc_u32_e32 v0, 0xcc, v72
; %bb.11:
	s_wait_alu 0xfffe
	s_or_saveexec_b32 s1, s0
	scratch_store_b64 off, v[0:1], off offset:8 ; 8-byte Folded Spill
	v_lshlrev_b64_e32 v[0:1], 4, v[1:2]
	v_lshl_add_u32 v218, v72, 4, 0
	scratch_store_b64 off, v[0:1], off      ; 8-byte Folded Spill
	s_wait_alu 0xfffe
	s_xor_b32 exec_lo, exec_lo, s1
	s_cbranch_execz .LBB0_13
; %bb.12:
	scratch_load_b64 v[2:3], off, off       ; 8-byte Folded Reload
	v_mov_b32_e32 v73, 0
	s_delay_alu instid0(VALU_DEP_1) | instskip(SKIP_4) | instid1(VALU_DEP_2)
	v_lshlrev_b64_e32 v[0:1], 4, v[72:73]
	s_wait_loadcnt 0x0
	v_add_co_u32 v2, s0, s8, v2
	s_wait_alu 0xf1ff
	v_add_co_ci_u32_e64 v3, s0, s9, v3, s0
	v_add_co_u32 v64, s0, v2, v0
	s_wait_alu 0xf1ff
	s_delay_alu instid0(VALU_DEP_2)
	v_add_co_ci_u32_e64 v65, s0, v3, v1, s0
	s_clause 0x10
	global_load_b128 v[0:3], v[64:65], off
	global_load_b128 v[4:7], v[64:65], off offset:1632
	global_load_b128 v[8:11], v[64:65], off offset:3264
	;; [unrolled: 1-line block ×16, first 2 shown]
	s_wait_loadcnt 0x10
	ds_store_b128 v218, v[0:3]
	s_wait_loadcnt 0xf
	ds_store_b128 v218, v[4:7] offset:1632
	s_wait_loadcnt 0xe
	ds_store_b128 v218, v[8:11] offset:3264
	;; [unrolled: 2-line block ×16, first 2 shown]
.LBB0_13:
	s_or_b32 exec_lo, exec_lo, s1
	global_wb scope:SCOPE_SE
	s_wait_storecnt_dscnt 0x0
	s_barrier_signal -1
	s_barrier_wait -1
	global_inv scope:SCOPE_SE
	ds_load_b128 v[4:7], v218
	ds_load_b128 v[0:3], v218 offset:1632
	ds_load_b128 v[8:11], v218 offset:3264
	;; [unrolled: 1-line block ×3, first 2 shown]
	s_mov_b32 s30, 0x2a9d6da3
	s_mov_b32 s31, 0xbfe58eea
	;; [unrolled: 1-line block ×18, first 2 shown]
	s_wait_dscnt 0x2
	v_add_f64_e32 v[18:19], v[6:7], v[2:3]
	v_add_f64_e32 v[16:17], v[4:5], v[0:1]
	s_mov_b32 s19, 0xbfc7851a
	s_mov_b32 s35, 0x3fedd6d0
	;; [unrolled: 1-line block ×15, first 2 shown]
	s_wait_alu 0xfffe
	s_mov_b32 s50, s20
	s_mov_b32 s47, 0x3feec746
	;; [unrolled: 1-line block ×15, first 2 shown]
	s_wait_dscnt 0x1
	s_delay_alu instid0(VALU_DEP_2) | instskip(NEXT) | instid1(VALU_DEP_2)
	v_add_f64_e32 v[18:19], v[18:19], v[10:11]
	v_add_f64_e32 v[16:17], v[16:17], v[8:9]
	s_wait_dscnt 0x0
	s_delay_alu instid0(VALU_DEP_2) | instskip(NEXT) | instid1(VALU_DEP_2)
	v_add_f64_e32 v[26:27], v[18:19], v[14:15]
	v_add_f64_e32 v[24:25], v[16:17], v[12:13]
	ds_load_b128 v[16:19], v218 offset:6528
	ds_load_b128 v[20:23], v218 offset:8160
	s_wait_dscnt 0x1
	v_add_f64_e32 v[26:27], v[26:27], v[18:19]
	v_add_f64_e32 v[24:25], v[24:25], v[16:17]
	s_wait_dscnt 0x0
	s_delay_alu instid0(VALU_DEP_2) | instskip(NEXT) | instid1(VALU_DEP_2)
	v_add_f64_e32 v[34:35], v[26:27], v[22:23]
	v_add_f64_e32 v[32:33], v[24:25], v[20:21]
	ds_load_b128 v[24:27], v218 offset:9792
	ds_load_b128 v[28:31], v218 offset:11424
	s_wait_dscnt 0x1
	;; [unrolled: 9-line block ×3, first 2 shown]
	v_add_f64_e32 v[44:45], v[32:33], v[36:37]
	v_add_f64_e32 v[46:47], v[34:35], v[38:39]
	v_add_f64_e64 v[118:119], v[32:33], -v[36:37]
	v_add_f64_e64 v[120:121], v[34:35], -v[38:39]
	v_add_f64_e32 v[42:43], v[42:43], v[34:35]
	v_add_f64_e32 v[40:41], v[40:41], v[32:33]
	s_delay_alu instid0(VALU_DEP_4) | instskip(NEXT) | instid1(VALU_DEP_4)
	v_mul_f64_e32 v[162:163], s[40:41], v[118:119]
	v_mul_f64_e32 v[158:159], s[40:41], v[120:121]
	;; [unrolled: 1-line block ×6, first 2 shown]
	v_add_f64_e32 v[42:43], v[42:43], v[38:39]
	v_add_f64_e32 v[40:41], v[40:41], v[36:37]
	ds_load_b128 v[32:35], v218 offset:16320
	ds_load_b128 v[36:39], v218 offset:17952
	s_wait_dscnt 0x1
	v_add_f64_e32 v[50:51], v[30:31], v[34:35]
	v_add_f64_e64 v[124:125], v[30:31], -v[34:35]
	v_add_f64_e32 v[48:49], v[28:29], v[32:33]
	v_add_f64_e64 v[122:123], v[28:29], -v[32:33]
	s_wait_dscnt 0x0
	v_add_f64_e32 v[52:53], v[24:25], v[36:37]
	v_add_f64_e32 v[54:55], v[26:27], v[38:39]
	v_add_f64_e64 v[128:129], v[24:25], -v[36:37]
	v_add_f64_e64 v[138:139], v[26:27], -v[38:39]
	v_add_f64_e32 v[30:31], v[42:43], v[34:35]
	v_add_f64_e32 v[28:29], v[40:41], v[32:33]
	v_mul_f64_e32 v[150:151], s[38:39], v[124:125]
	v_mul_f64_e32 v[198:199], s[26:27], v[124:125]
	;; [unrolled: 1-line block ×12, first 2 shown]
	v_add_f64_e32 v[34:35], v[30:31], v[38:39]
	v_add_f64_e32 v[32:33], v[28:29], v[36:37]
	ds_load_b128 v[24:27], v218 offset:19584
	ds_load_b128 v[28:31], v218 offset:21216
	s_wait_dscnt 0x1
	v_add_f64_e32 v[58:59], v[22:23], v[26:27]
	v_add_f64_e64 v[156:157], v[22:23], -v[26:27]
	v_add_f64_e32 v[56:57], v[20:21], v[24:25]
	v_add_f64_e64 v[154:155], v[20:21], -v[24:25]
	s_wait_dscnt 0x0
	v_add_f64_e32 v[60:61], v[16:17], v[28:29]
	v_add_f64_e32 v[62:63], v[18:19], v[30:31]
	v_add_f64_e64 v[160:161], v[16:17], -v[28:29]
	v_add_f64_e64 v[164:165], v[18:19], -v[30:31]
	v_add_f64_e32 v[22:23], v[34:35], v[26:27]
	v_add_f64_e32 v[20:21], v[32:33], v[24:25]
	v_mul_f64_e32 v[142:143], s[50:51], v[156:157]
	v_mul_f64_e32 v[190:191], s[42:43], v[156:157]
	;; [unrolled: 1-line block ×12, first 2 shown]
	v_add_f64_e32 v[26:27], v[22:23], v[30:31]
	v_add_f64_e32 v[24:25], v[20:21], v[28:29]
	ds_load_b128 v[16:19], v218 offset:22848
	ds_load_b128 v[20:23], v218 offset:24480
	s_wait_dscnt 0x1
	v_add_f64_e32 v[66:67], v[14:15], v[18:19]
	v_add_f64_e64 v[168:169], v[14:15], -v[18:19]
	s_wait_dscnt 0x0
	v_add_f64_e32 v[68:69], v[8:9], v[20:21]
	v_add_f64_e32 v[70:71], v[10:11], v[22:23]
	v_add_f64_e64 v[170:171], v[8:9], -v[20:21]
	v_add_f64_e64 v[176:177], v[10:11], -v[22:23]
	ds_load_b128 v[8:11], v218 offset:26112
	v_add_f64_e32 v[64:65], v[12:13], v[16:17]
	v_add_f64_e64 v[166:167], v[12:13], -v[16:17]
	v_add_f64_e32 v[14:15], v[26:27], v[18:19]
	v_add_f64_e32 v[12:13], v[24:25], v[16:17]
	s_wait_dscnt 0x0
	v_add_f64_e64 v[16:17], v[2:3], -v[10:11]
	v_add_f64_e32 v[18:19], v[0:1], v[8:9]
	v_mul_f64_e32 v[132:133], s[22:23], v[168:169]
	v_mul_f64_e32 v[182:183], s[52:53], v[168:169]
	;; [unrolled: 1-line block ×10, first 2 shown]
	v_add_f64_e32 v[14:15], v[14:15], v[22:23]
	v_add_f64_e32 v[12:13], v[12:13], v[20:21]
	;; [unrolled: 1-line block ×3, first 2 shown]
	v_add_f64_e64 v[22:23], v[0:1], -v[8:9]
	v_mul_f64_e32 v[24:25], s[24:25], v[16:17]
	v_mul_f64_e32 v[26:27], s[22:23], v[16:17]
	;; [unrolled: 1-line block ×3, first 2 shown]
	v_add_f64_e32 v[2:3], v[14:15], v[10:11]
	v_mul_f64_e32 v[10:11], s[30:31], v[16:17]
	v_add_f64_e32 v[0:1], v[12:13], v[8:9]
	v_mul_f64_e32 v[8:9], s[36:37], v[16:17]
	v_mul_f64_e32 v[78:79], s[30:31], v[22:23]
	;; [unrolled: 1-line block ×6, first 2 shown]
	v_fma_f64 v[38:39], v[18:19], s[10:11], -v[24:25]
	v_fma_f64 v[24:25], v[18:19], s[10:11], v[24:25]
	v_fma_f64 v[40:41], v[18:19], s[6:7], -v[26:27]
	v_fma_f64 v[26:27], v[18:19], s[6:7], v[26:27]
	;; [unrolled: 2-line block ×3, first 2 shown]
	v_mul_f64_e32 v[82:83], s[26:27], v[22:23]
	v_mul_f64_e32 v[88:89], s[22:23], v[22:23]
	;; [unrolled: 1-line block ×4, first 2 shown]
	v_fma_f64 v[32:33], v[18:19], s[16:17], -v[10:11]
	v_fma_f64 v[10:11], v[18:19], s[16:17], v[10:11]
	v_fma_f64 v[30:31], v[18:19], s[34:35], -v[8:9]
	v_fma_f64 v[8:9], v[18:19], s[34:35], v[8:9]
	v_fma_f64 v[96:97], v[20:21], s[16:17], -v[78:79]
	v_fma_f64 v[34:35], v[18:19], s[14:15], -v[12:13]
	v_fma_f64 v[12:13], v[18:19], s[14:15], v[12:13]
	v_fma_f64 v[36:37], v[18:19], s[12:13], -v[14:15]
	v_fma_f64 v[14:15], v[18:19], s[12:13], v[14:15]
	;; [unrolled: 2-line block ×3, first 2 shown]
	v_mul_f64_e32 v[18:19], s[36:37], v[22:23]
	v_fma_f64 v[100:101], v[20:21], s[14:15], -v[80:81]
	v_mul_f64_e32 v[22:23], s[18:19], v[22:23]
	v_fma_f64 v[104:105], v[20:21], s[12:13], -v[82:83]
	v_fma_f64 v[110:111], v[20:21], s[6:7], v[88:89]
	v_fma_f64 v[88:89], v[20:21], s[6:7], -v[88:89]
	v_fma_f64 v[112:113], v[20:21], s[2:3], v[90:91]
	;; [unrolled: 2-line block ×3, first 2 shown]
	v_fma_f64 v[98:99], v[20:21], s[14:15], v[80:81]
	v_fma_f64 v[102:103], v[20:21], s[12:13], v[82:83]
	;; [unrolled: 1-line block ×3, first 2 shown]
	v_fma_f64 v[108:109], v[20:21], s[10:11], -v[86:87]
	v_add_f64_e32 v[38:39], v[4:5], v[38:39]
	v_add_f64_e32 v[24:25], v[4:5], v[24:25]
	;; [unrolled: 1-line block ×6, first 2 shown]
	v_mul_f64_e32 v[26:27], s[50:51], v[176:177]
	v_mul_f64_e32 v[28:29], s[50:51], v[170:171]
	v_add_f64_e32 v[10:11], v[4:5], v[10:11]
	v_add_f64_e32 v[8:9], v[4:5], v[8:9]
	;; [unrolled: 1-line block ×5, first 2 shown]
	v_mul_f64_e32 v[84:85], s[30:31], v[176:177]
	v_fma_f64 v[92:93], v[20:21], s[34:35], v[18:19]
	v_fma_f64 v[18:19], v[20:21], s[34:35], -v[18:19]
	v_fma_f64 v[126:127], v[20:21], s[0:1], v[22:23]
	v_fma_f64 v[20:21], v[20:21], s[0:1], -v[22:23]
	v_add_f64_e32 v[22:23], v[4:5], v[30:31]
	v_add_f64_e32 v[221:222], v[6:7], v[88:89]
	;; [unrolled: 1-line block ×4, first 2 shown]
	v_mul_f64_e32 v[88:89], s[30:31], v[170:171]
	v_mul_f64_e32 v[90:91], s[28:29], v[168:169]
	v_add_f64_e32 v[210:211], v[6:7], v[102:103]
	v_add_f64_e32 v[212:213], v[6:7], v[106:107]
	;; [unrolled: 1-line block ×5, first 2 shown]
	v_mul_f64_e32 v[102:103], s[22:23], v[138:139]
	v_mul_f64_e32 v[106:107], s[20:21], v[124:125]
	;; [unrolled: 1-line block ×5, first 2 shown]
	v_fma_f64 v[14:15], v[70:71], s[6:7], v[180:181]
	v_fma_f64 v[16:17], v[64:65], s[0:1], -v[182:183]
	scratch_store_b64 off, v[10:11], off offset:40 ; 8-byte Folded Spill
	v_add_f64_e32 v[10:11], v[6:7], v[96:97]
	scratch_store_b64 off, v[8:9], off offset:16 ; 8-byte Folded Spill
	v_mul_f64_e32 v[96:97], s[26:27], v[160:161]
	v_add_f64_e32 v[30:31], v[6:7], v[92:93]
	v_add_f64_e32 v[8:9], v[6:7], v[18:19]
	;; [unrolled: 1-line block ×5, first 2 shown]
	v_mul_f64_e32 v[92:93], s[28:29], v[166:167]
	v_mul_f64_e32 v[94:95], s[26:27], v[164:165]
	;; [unrolled: 1-line block ×3, first 2 shown]
	scratch_store_b64 off, v[10:11], off offset:32 ; 8-byte Folded Spill
	v_add_f64_e32 v[10:11], v[4:5], v[12:13]
	v_fma_f64 v[12:13], v[64:65], s[6:7], -v[132:133]
	scratch_store_b64 off, v[10:11], off offset:56 ; 8-byte Folded Spill
	v_add_f64_e32 v[10:11], v[6:7], v[100:101]
	scratch_store_b64 off, v[8:9], off offset:24 ; 8-byte Folded Spill
	v_add_f64_e32 v[8:9], v[4:5], v[32:33]
	v_add_f64_e32 v[32:33], v[4:5], v[34:35]
	v_fma_f64 v[4:5], v[68:69], s[16:17], -v[84:85]
	v_add_f64_e32 v[34:35], v[6:7], v[98:99]
	v_mul_f64_e32 v[98:99], s[24:25], v[156:157]
	v_mul_f64_e32 v[100:101], s[24:25], v[154:155]
	scratch_store_b64 off, v[10:11], off offset:48 ; 8-byte Folded Spill
	v_add_f64_e32 v[10:11], v[6:7], v[104:105]
	v_fma_f64 v[6:7], v[70:71], s[16:17], v[88:89]
	v_mul_f64_e32 v[104:105], s[22:23], v[128:129]
	v_add_f64_e32 v[4:5], v[4:5], v[22:23]
	v_add_f64_e32 v[14:15], v[14:15], v[34:35]
	v_fma_f64 v[22:23], v[70:71], s[2:3], v[28:29]
	scratch_store_b64 off, v[10:11], off offset:64 ; 8-byte Folded Spill
	v_fma_f64 v[10:11], v[64:65], s[14:15], -v[90:91]
	v_add_f64_e32 v[6:7], v[6:7], v[30:31]
	v_mul_f64_e32 v[30:31], s[42:43], v[168:169]
	v_add_f64_e32 v[22:23], v[22:23], v[212:213]
	s_delay_alu instid0(VALU_DEP_4) | instskip(SKIP_1) | instid1(VALU_DEP_1)
	v_add_f64_e32 v[4:5], v[10:11], v[4:5]
	v_fma_f64 v[10:11], v[66:67], s[14:15], v[92:93]
	v_add_f64_e32 v[6:7], v[10:11], v[6:7]
	v_fma_f64 v[10:11], v[60:61], s[12:13], -v[94:95]
	s_delay_alu instid0(VALU_DEP_1) | instskip(SKIP_1) | instid1(VALU_DEP_1)
	v_add_f64_e32 v[4:5], v[10:11], v[4:5]
	v_fma_f64 v[10:11], v[62:63], s[12:13], v[96:97]
	v_add_f64_e32 v[6:7], v[10:11], v[6:7]
	v_fma_f64 v[10:11], v[56:57], s[10:11], -v[98:99]
	s_delay_alu instid0(VALU_DEP_1) | instskip(SKIP_1) | instid1(VALU_DEP_1)
	;; [unrolled: 5-line block ×5, first 2 shown]
	v_add_f64_e32 v[4:5], v[10:11], v[4:5]
	v_fma_f64 v[10:11], v[46:47], s[0:1], v[112:113]
	v_add_f64_e32 v[6:7], v[10:11], v[6:7]
	v_fma_f64 v[10:11], v[68:69], s[12:13], -v[126:127]
	s_delay_alu instid0(VALU_DEP_1) | instskip(SKIP_1) | instid1(VALU_DEP_2)
	v_add_f64_e32 v[8:9], v[10:11], v[8:9]
	v_fma_f64 v[10:11], v[70:71], s[12:13], v[130:131]
	v_add_f64_e32 v[8:9], v[12:13], v[8:9]
	s_delay_alu instid0(VALU_DEP_2) | instskip(SKIP_2) | instid1(VALU_DEP_2)
	v_add_f64_e32 v[10:11], v[10:11], v[18:19]
	v_fma_f64 v[12:13], v[66:67], s[6:7], v[134:135]
	v_fma_f64 v[18:19], v[70:71], s[0:1], v[235:236]
	v_add_f64_e32 v[10:11], v[12:13], v[10:11]
	v_fma_f64 v[12:13], v[60:61], s[0:1], -v[136:137]
	s_delay_alu instid0(VALU_DEP_3) | instskip(SKIP_1) | instid1(VALU_DEP_3)
	v_add_f64_e32 v[18:19], v[18:19], v[210:211]
	v_mul_f64_e32 v[210:211], s[46:47], v[168:169]
	v_add_f64_e32 v[8:9], v[12:13], v[8:9]
	v_fma_f64 v[12:13], v[62:63], s[0:1], v[140:141]
	s_delay_alu instid0(VALU_DEP_3) | instskip(NEXT) | instid1(VALU_DEP_2)
	v_fma_f64 v[20:21], v[64:65], s[10:11], -v[210:211]
	v_add_f64_e32 v[10:11], v[12:13], v[10:11]
	v_fma_f64 v[12:13], v[56:57], s[2:3], -v[142:143]
	s_delay_alu instid0(VALU_DEP_1) | instskip(SKIP_1) | instid1(VALU_DEP_1)
	v_add_f64_e32 v[8:9], v[12:13], v[8:9]
	v_fma_f64 v[12:13], v[58:59], s[2:3], v[144:145]
	v_add_f64_e32 v[10:11], v[12:13], v[10:11]
	v_fma_f64 v[12:13], v[52:53], s[10:11], -v[146:147]
	s_delay_alu instid0(VALU_DEP_1) | instskip(SKIP_1) | instid1(VALU_DEP_1)
	v_add_f64_e32 v[8:9], v[12:13], v[8:9]
	v_fma_f64 v[12:13], v[54:55], s[10:11], v[148:149]
	;; [unrolled: 5-line block ×4, first 2 shown]
	v_add_f64_e32 v[10:11], v[12:13], v[10:11]
	v_fma_f64 v[12:13], v[68:69], s[6:7], -v[178:179]
	s_delay_alu instid0(VALU_DEP_1) | instskip(SKIP_1) | instid1(VALU_DEP_2)
	v_add_f64_e32 v[12:13], v[12:13], v[32:33]
	v_fma_f64 v[32:33], v[64:65], s[16:17], -v[30:31]
	v_add_f64_e32 v[12:13], v[16:17], v[12:13]
	v_fma_f64 v[16:17], v[66:67], s[0:1], v[184:185]
	s_delay_alu instid0(VALU_DEP_1) | instskip(SKIP_1) | instid1(VALU_DEP_1)
	v_add_f64_e32 v[14:15], v[16:17], v[14:15]
	v_fma_f64 v[16:17], v[60:61], s[10:11], -v[186:187]
	v_add_f64_e32 v[12:13], v[16:17], v[12:13]
	v_fma_f64 v[16:17], v[62:63], s[10:11], v[188:189]
	s_delay_alu instid0(VALU_DEP_1) | instskip(SKIP_1) | instid1(VALU_DEP_1)
	;; [unrolled: 5-line block ×6, first 2 shown]
	v_add_f64_e32 v[14:15], v[16:17], v[14:15]
	v_fma_f64 v[16:17], v[68:69], s[0:1], -v[233:234]
	v_add_f64_e32 v[16:17], v[16:17], v[36:37]
	s_delay_alu instid0(VALU_DEP_1) | instskip(SKIP_1) | instid1(VALU_DEP_1)
	v_add_f64_e32 v[16:17], v[20:21], v[16:17]
	v_fma_f64 v[20:21], v[66:67], s[10:11], v[237:238]
	v_add_f64_e32 v[18:19], v[20:21], v[18:19]
	v_fma_f64 v[20:21], v[60:61], s[34:35], -v[239:240]
	s_delay_alu instid0(VALU_DEP_1) | instskip(SKIP_1) | instid1(VALU_DEP_1)
	v_add_f64_e32 v[16:17], v[20:21], v[16:17]
	v_fma_f64 v[20:21], v[62:63], s[34:35], v[241:242]
	v_add_f64_e32 v[18:19], v[20:21], v[18:19]
	v_fma_f64 v[20:21], v[56:57], s[14:15], -v[243:244]
	;; [unrolled: 5-line block ×5, first 2 shown]
	v_fma_f64 v[73:74], v[44:45], s[16:17], v[73:74]
	s_delay_alu instid0(VALU_DEP_2) | instskip(SKIP_2) | instid1(VALU_DEP_2)
	v_add_f64_e32 v[16:17], v[20:21], v[16:17]
	v_fma_f64 v[20:21], v[46:47], s[16:17], v[75:76]
	v_fma_f64 v[75:76], v[46:47], s[16:17], -v[75:76]
	v_add_f64_e32 v[18:19], v[20:21], v[18:19]
	v_fma_f64 v[20:21], v[68:69], s[2:3], -v[26:27]
	v_fma_f64 v[26:27], v[68:69], s[2:3], v[26:27]
	s_delay_alu instid0(VALU_DEP_2) | instskip(NEXT) | instid1(VALU_DEP_2)
	v_add_f64_e32 v[20:21], v[20:21], v[38:39]
	v_add_f64_e32 v[24:25], v[26:27], v[24:25]
	v_fma_f64 v[26:27], v[70:71], s[2:3], -v[28:29]
	v_fma_f64 v[28:29], v[64:65], s[16:17], v[30:31]
	s_delay_alu instid0(VALU_DEP_4) | instskip(SKIP_1) | instid1(VALU_DEP_4)
	v_add_f64_e32 v[20:21], v[32:33], v[20:21]
	v_mul_f64_e32 v[32:33], s[42:43], v[166:167]
	v_add_f64_e32 v[26:27], v[26:27], v[214:215]
	s_delay_alu instid0(VALU_DEP_4) | instskip(NEXT) | instid1(VALU_DEP_3)
	v_add_f64_e32 v[24:25], v[28:29], v[24:25]
	v_fma_f64 v[34:35], v[66:67], s[16:17], v[32:33]
	v_fma_f64 v[28:29], v[66:67], s[16:17], -v[32:33]
	v_mul_f64_e32 v[32:33], s[46:47], v[176:177]
	s_delay_alu instid0(VALU_DEP_3) | instskip(SKIP_1) | instid1(VALU_DEP_4)
	v_add_f64_e32 v[22:23], v[34:35], v[22:23]
	v_mul_f64_e32 v[34:35], s[28:29], v[164:165]
	v_add_f64_e32 v[26:27], v[28:29], v[26:27]
	s_delay_alu instid0(VALU_DEP_2) | instskip(SKIP_2) | instid1(VALU_DEP_3)
	v_fma_f64 v[36:37], v[60:61], s[14:15], -v[34:35]
	v_fma_f64 v[28:29], v[60:61], s[14:15], v[34:35]
	v_mul_f64_e32 v[34:35], s[46:47], v[170:171]
	v_add_f64_e32 v[20:21], v[36:37], v[20:21]
	v_mul_f64_e32 v[36:37], s[28:29], v[160:161]
	s_delay_alu instid0(VALU_DEP_4) | instskip(NEXT) | instid1(VALU_DEP_2)
	v_add_f64_e32 v[24:25], v[28:29], v[24:25]
	v_fma_f64 v[38:39], v[62:63], s[14:15], v[36:37]
	v_fma_f64 v[28:29], v[62:63], s[14:15], -v[36:37]
	v_mul_f64_e32 v[36:37], s[36:37], v[168:169]
	s_delay_alu instid0(VALU_DEP_3) | instskip(SKIP_1) | instid1(VALU_DEP_4)
	v_add_f64_e32 v[22:23], v[38:39], v[22:23]
	v_mul_f64_e32 v[38:39], s[18:19], v[156:157]
	v_add_f64_e32 v[26:27], v[28:29], v[26:27]
	s_delay_alu instid0(VALU_DEP_2) | instskip(SKIP_3) | instid1(VALU_DEP_4)
	v_fma_f64 v[212:213], v[56:57], s[0:1], -v[38:39]
	v_fma_f64 v[28:29], v[56:57], s[0:1], v[38:39]
	v_fma_f64 v[38:39], v[64:65], s[34:35], -v[36:37]
	v_fma_f64 v[36:37], v[64:65], s[34:35], v[36:37]
	v_add_f64_e32 v[20:21], v[212:213], v[20:21]
	v_mul_f64_e32 v[212:213], s[18:19], v[154:155]
	v_add_f64_e32 v[24:25], v[28:29], v[24:25]
	s_delay_alu instid0(VALU_DEP_2) | instskip(SKIP_1) | instid1(VALU_DEP_2)
	v_fma_f64 v[78:79], v[58:59], s[0:1], v[212:213]
	v_fma_f64 v[28:29], v[58:59], s[0:1], -v[212:213]
	v_add_f64_e32 v[22:23], v[78:79], v[22:23]
	v_mul_f64_e32 v[78:79], s[44:45], v[138:139]
	s_delay_alu instid0(VALU_DEP_3) | instskip(NEXT) | instid1(VALU_DEP_2)
	v_add_f64_e32 v[26:27], v[28:29], v[26:27]
	v_fma_f64 v[80:81], v[52:53], s[12:13], -v[78:79]
	v_fma_f64 v[28:29], v[52:53], s[12:13], v[78:79]
	s_delay_alu instid0(VALU_DEP_2) | instskip(SKIP_1) | instid1(VALU_DEP_3)
	v_add_f64_e32 v[20:21], v[80:81], v[20:21]
	v_mul_f64_e32 v[80:81], s[44:45], v[128:129]
	v_add_f64_e32 v[24:25], v[28:29], v[24:25]
	s_delay_alu instid0(VALU_DEP_2) | instskip(SKIP_1) | instid1(VALU_DEP_2)
	v_fma_f64 v[82:83], v[54:55], s[12:13], v[80:81]
	v_fma_f64 v[28:29], v[54:55], s[12:13], -v[80:81]
	v_add_f64_e32 v[22:23], v[82:83], v[22:23]
	v_mul_f64_e32 v[82:83], s[36:37], v[124:125]
	s_delay_alu instid0(VALU_DEP_3) | instskip(NEXT) | instid1(VALU_DEP_2)
	v_add_f64_e32 v[26:27], v[28:29], v[26:27]
	v_fma_f64 v[86:87], v[48:49], s[34:35], -v[82:83]
	v_fma_f64 v[28:29], v[48:49], s[34:35], v[82:83]
	s_delay_alu instid0(VALU_DEP_2) | instskip(SKIP_1) | instid1(VALU_DEP_3)
	v_add_f64_e32 v[20:21], v[86:87], v[20:21]
	v_mul_f64_e32 v[86:87], s[36:37], v[122:123]
	v_add_f64_e32 v[24:25], v[28:29], v[24:25]
	s_delay_alu instid0(VALU_DEP_2) | instskip(SKIP_1) | instid1(VALU_DEP_2)
	v_fma_f64 v[114:115], v[50:51], s[34:35], v[86:87]
	v_fma_f64 v[28:29], v[50:51], s[34:35], -v[86:87]
	v_add_f64_e32 v[22:23], v[114:115], v[22:23]
	v_mul_f64_e32 v[114:115], s[22:23], v[120:121]
	s_delay_alu instid0(VALU_DEP_3) | instskip(NEXT) | instid1(VALU_DEP_2)
	v_add_f64_e32 v[26:27], v[28:29], v[26:27]
	v_fma_f64 v[116:117], v[44:45], s[6:7], -v[114:115]
	v_fma_f64 v[28:29], v[44:45], s[6:7], v[114:115]
	s_delay_alu instid0(VALU_DEP_2) | instskip(SKIP_1) | instid1(VALU_DEP_3)
	v_add_f64_e32 v[20:21], v[116:117], v[20:21]
	v_mul_f64_e32 v[116:117], s[22:23], v[118:119]
	v_add_f64_e32 v[24:25], v[28:29], v[24:25]
	v_fma_f64 v[28:29], v[68:69], s[10:11], -v[32:33]
	v_fma_f64 v[32:33], v[68:69], s[10:11], v[32:33]
	s_delay_alu instid0(VALU_DEP_4) | instskip(SKIP_1) | instid1(VALU_DEP_4)
	v_fma_f64 v[30:31], v[46:47], s[6:7], -v[116:117]
	v_fma_f64 v[172:173], v[46:47], s[6:7], v[116:117]
	v_add_f64_e32 v[28:29], v[28:29], v[40:41]
	s_delay_alu instid0(VALU_DEP_4) | instskip(NEXT) | instid1(VALU_DEP_4)
	v_add_f64_e32 v[32:33], v[32:33], v[219:220]
	v_add_f64_e32 v[26:27], v[30:31], v[26:27]
	v_fma_f64 v[30:31], v[70:71], s[10:11], v[34:35]
	s_delay_alu instid0(VALU_DEP_4)
	v_add_f64_e32 v[28:29], v[38:39], v[28:29]
	v_mul_f64_e32 v[38:39], s[36:37], v[166:167]
	v_fma_f64 v[34:35], v[70:71], s[10:11], -v[34:35]
	v_add_f64_e32 v[32:33], v[36:37], v[32:33]
	v_add_f64_e32 v[22:23], v[172:173], v[22:23]
	;; [unrolled: 1-line block ×3, first 2 shown]
	v_fma_f64 v[40:41], v[66:67], s[34:35], v[38:39]
	v_add_f64_e32 v[34:35], v[34:35], v[221:222]
	v_fma_f64 v[36:37], v[66:67], s[34:35], -v[38:39]
	s_delay_alu instid0(VALU_DEP_3) | instskip(SKIP_1) | instid1(VALU_DEP_3)
	v_add_f64_e32 v[30:31], v[40:41], v[30:31]
	v_mul_f64_e32 v[40:41], s[20:21], v[164:165]
	v_add_f64_e32 v[34:35], v[36:37], v[34:35]
	s_delay_alu instid0(VALU_DEP_2) | instskip(SKIP_2) | instid1(VALU_DEP_3)
	v_fma_f64 v[78:79], v[60:61], s[2:3], -v[40:41]
	v_fma_f64 v[36:37], v[60:61], s[2:3], v[40:41]
	v_mul_f64_e32 v[40:41], s[38:39], v[176:177]
	v_add_f64_e32 v[28:29], v[78:79], v[28:29]
	v_mul_f64_e32 v[78:79], s[20:21], v[160:161]
	s_delay_alu instid0(VALU_DEP_4) | instskip(NEXT) | instid1(VALU_DEP_2)
	v_add_f64_e32 v[32:33], v[36:37], v[32:33]
	v_fma_f64 v[80:81], v[62:63], s[2:3], v[78:79]
	v_fma_f64 v[36:37], v[62:63], s[2:3], -v[78:79]
	v_mul_f64_e32 v[78:79], s[26:27], v[168:169]
	s_delay_alu instid0(VALU_DEP_3) | instskip(SKIP_1) | instid1(VALU_DEP_4)
	v_add_f64_e32 v[30:31], v[80:81], v[30:31]
	v_mul_f64_e32 v[80:81], s[44:45], v[156:157]
	v_add_f64_e32 v[34:35], v[36:37], v[34:35]
	s_delay_alu instid0(VALU_DEP_2) | instskip(SKIP_3) | instid1(VALU_DEP_4)
	v_fma_f64 v[82:83], v[56:57], s[12:13], -v[80:81]
	v_fma_f64 v[36:37], v[56:57], s[12:13], v[80:81]
	v_fma_f64 v[80:81], v[64:65], s[12:13], -v[78:79]
	v_fma_f64 v[78:79], v[64:65], s[12:13], v[78:79]
	v_add_f64_e32 v[28:29], v[82:83], v[28:29]
	v_mul_f64_e32 v[82:83], s[44:45], v[154:155]
	v_add_f64_e32 v[32:33], v[36:37], v[32:33]
	s_delay_alu instid0(VALU_DEP_2) | instskip(SKIP_1) | instid1(VALU_DEP_2)
	v_fma_f64 v[86:87], v[58:59], s[12:13], v[82:83]
	v_fma_f64 v[36:37], v[58:59], s[12:13], -v[82:83]
	v_add_f64_e32 v[30:31], v[86:87], v[30:31]
	v_mul_f64_e32 v[86:87], s[30:31], v[138:139]
	s_delay_alu instid0(VALU_DEP_3) | instskip(NEXT) | instid1(VALU_DEP_2)
	v_add_f64_e32 v[34:35], v[36:37], v[34:35]
	v_fma_f64 v[114:115], v[52:53], s[16:17], -v[86:87]
	v_fma_f64 v[36:37], v[52:53], s[16:17], v[86:87]
	s_delay_alu instid0(VALU_DEP_2) | instskip(SKIP_1) | instid1(VALU_DEP_3)
	v_add_f64_e32 v[28:29], v[114:115], v[28:29]
	v_mul_f64_e32 v[114:115], s[30:31], v[128:129]
	v_add_f64_e32 v[32:33], v[36:37], v[32:33]
	s_delay_alu instid0(VALU_DEP_2) | instskip(SKIP_1) | instid1(VALU_DEP_2)
	v_fma_f64 v[116:117], v[54:55], s[16:17], v[114:115]
	v_fma_f64 v[36:37], v[54:55], s[16:17], -v[114:115]
	v_add_f64_e32 v[30:31], v[116:117], v[30:31]
	v_mul_f64_e32 v[116:117], s[18:19], v[124:125]
	s_delay_alu instid0(VALU_DEP_3) | instskip(NEXT) | instid1(VALU_DEP_2)
	v_add_f64_e32 v[34:35], v[36:37], v[34:35]
	v_fma_f64 v[172:173], v[48:49], s[0:1], -v[116:117]
	v_fma_f64 v[36:37], v[48:49], s[0:1], v[116:117]
	s_delay_alu instid0(VALU_DEP_2) | instskip(SKIP_1) | instid1(VALU_DEP_3)
	;; [unrolled: 13-line block ×3, first 2 shown]
	v_add_f64_e32 v[28:29], v[214:215], v[28:29]
	v_mul_f64_e32 v[214:215], s[38:39], v[118:119]
	v_add_f64_e32 v[32:33], v[36:37], v[32:33]
	v_fma_f64 v[36:37], v[68:69], s[14:15], -v[40:41]
	v_fma_f64 v[40:41], v[68:69], s[14:15], v[40:41]
	s_delay_alu instid0(VALU_DEP_4) | instskip(SKIP_1) | instid1(VALU_DEP_4)
	v_fma_f64 v[38:39], v[46:47], s[14:15], -v[214:215]
	v_fma_f64 v[216:217], v[46:47], s[14:15], v[214:215]
	v_add_f64_e32 v[36:37], v[36:37], v[42:43]
	v_mul_f64_e32 v[42:43], s[38:39], v[170:171]
	v_add_f64_e32 v[40:41], v[40:41], v[225:226]
	v_add_f64_e32 v[34:35], v[38:39], v[34:35]
	;; [unrolled: 1-line block ×4, first 2 shown]
	v_fma_f64 v[38:39], v[70:71], s[14:15], v[42:43]
	v_mul_f64_e32 v[80:81], s[26:27], v[166:167]
	v_fma_f64 v[42:43], v[70:71], s[14:15], -v[42:43]
	v_add_f64_e32 v[40:41], v[78:79], v[40:41]
	s_delay_alu instid0(VALU_DEP_4) | instskip(NEXT) | instid1(VALU_DEP_4)
	v_add_f64_e32 v[38:39], v[38:39], v[223:224]
	v_fma_f64 v[82:83], v[66:67], s[12:13], v[80:81]
	s_delay_alu instid0(VALU_DEP_4) | instskip(SKIP_1) | instid1(VALU_DEP_3)
	v_add_f64_e32 v[42:43], v[42:43], v[227:228]
	v_fma_f64 v[78:79], v[66:67], s[12:13], -v[80:81]
	v_add_f64_e32 v[38:39], v[82:83], v[38:39]
	v_mul_f64_e32 v[82:83], s[48:49], v[164:165]
	s_delay_alu instid0(VALU_DEP_3) | instskip(SKIP_1) | instid1(VALU_DEP_3)
	v_add_f64_e32 v[42:43], v[78:79], v[42:43]
	v_mul_f64_e32 v[164:165], s[42:43], v[164:165]
	v_fma_f64 v[86:87], v[60:61], s[6:7], -v[82:83]
	v_fma_f64 v[78:79], v[60:61], s[6:7], v[82:83]
	v_mul_f64_e32 v[82:83], s[40:41], v[170:171]
	s_delay_alu instid0(VALU_DEP_3) | instskip(SKIP_1) | instid1(VALU_DEP_4)
	v_add_f64_e32 v[36:37], v[86:87], v[36:37]
	v_mul_f64_e32 v[86:87], s[48:49], v[160:161]
	v_add_f64_e32 v[40:41], v[78:79], v[40:41]
	v_mul_f64_e32 v[160:161], s[42:43], v[160:161]
	s_delay_alu instid0(VALU_DEP_3) | instskip(SKIP_2) | instid1(VALU_DEP_3)
	v_fma_f64 v[114:115], v[62:63], s[6:7], v[86:87]
	v_fma_f64 v[78:79], v[62:63], s[6:7], -v[86:87]
	v_fma_f64 v[86:87], v[70:71], s[34:35], v[82:83]
	v_add_f64_e32 v[38:39], v[114:115], v[38:39]
	v_mul_f64_e32 v[114:115], s[36:37], v[156:157]
	s_delay_alu instid0(VALU_DEP_4) | instskip(NEXT) | instid1(VALU_DEP_4)
	v_add_f64_e32 v[42:43], v[78:79], v[42:43]
	v_add_f64_e32 v[86:87], v[86:87], v[231:232]
	v_mul_f64_e32 v[156:157], s[22:23], v[156:157]
	s_delay_alu instid0(VALU_DEP_4) | instskip(SKIP_3) | instid1(VALU_DEP_4)
	v_fma_f64 v[116:117], v[56:57], s[34:35], -v[114:115]
	v_fma_f64 v[78:79], v[56:57], s[34:35], v[114:115]
	v_mul_f64_e32 v[114:115], s[20:21], v[168:169]
	v_mul_f64_e32 v[168:169], s[44:45], v[118:119]
	v_add_f64_e32 v[36:37], v[116:117], v[36:37]
	v_mul_f64_e32 v[116:117], s[36:37], v[154:155]
	v_add_f64_e32 v[40:41], v[78:79], v[40:41]
	v_mul_f64_e32 v[154:155], s[22:23], v[154:155]
	s_delay_alu instid0(VALU_DEP_3) | instskip(SKIP_2) | instid1(VALU_DEP_3)
	v_fma_f64 v[172:173], v[58:59], s[34:35], v[116:117]
	v_fma_f64 v[78:79], v[58:59], s[34:35], -v[116:117]
	v_fma_f64 v[116:117], v[64:65], s[2:3], -v[114:115]
	v_add_f64_e32 v[38:39], v[172:173], v[38:39]
	v_mul_f64_e32 v[172:173], s[18:19], v[138:139]
	s_delay_alu instid0(VALU_DEP_4) | instskip(SKIP_1) | instid1(VALU_DEP_3)
	v_add_f64_e32 v[42:43], v[78:79], v[42:43]
	v_mul_f64_e32 v[138:139], s[38:39], v[138:139]
	v_fma_f64 v[212:213], v[52:53], s[0:1], -v[172:173]
	v_fma_f64 v[78:79], v[52:53], s[0:1], v[172:173]
	s_delay_alu instid0(VALU_DEP_2) | instskip(SKIP_1) | instid1(VALU_DEP_3)
	v_add_f64_e32 v[36:37], v[212:213], v[36:37]
	v_mul_f64_e32 v[212:213], s[18:19], v[128:129]
	v_add_f64_e32 v[40:41], v[78:79], v[40:41]
	v_mul_f64_e32 v[128:129], s[38:39], v[128:129]
	s_delay_alu instid0(VALU_DEP_3) | instskip(SKIP_1) | instid1(VALU_DEP_2)
	v_fma_f64 v[214:215], v[54:55], s[0:1], v[212:213]
	v_fma_f64 v[78:79], v[54:55], s[0:1], -v[212:213]
	v_add_f64_e32 v[38:39], v[214:215], v[38:39]
	v_mul_f64_e32 v[214:215], s[42:43], v[124:125]
	s_delay_alu instid0(VALU_DEP_3) | instskip(SKIP_1) | instid1(VALU_DEP_3)
	v_add_f64_e32 v[42:43], v[78:79], v[42:43]
	v_mul_f64_e32 v[124:125], s[24:25], v[124:125]
	v_fma_f64 v[216:217], v[48:49], s[16:17], -v[214:215]
	v_fma_f64 v[78:79], v[48:49], s[16:17], v[214:215]
	s_delay_alu instid0(VALU_DEP_2) | instskip(SKIP_1) | instid1(VALU_DEP_3)
	v_add_f64_e32 v[36:37], v[216:217], v[36:37]
	v_mul_f64_e32 v[216:217], s[42:43], v[122:123]
	v_add_f64_e32 v[40:41], v[78:79], v[40:41]
	v_mul_f64_e32 v[122:123], s[24:25], v[122:123]
	s_delay_alu instid0(VALU_DEP_3) | instskip(SKIP_1) | instid1(VALU_DEP_2)
	v_fma_f64 v[219:220], v[50:51], s[16:17], v[216:217]
	v_fma_f64 v[78:79], v[50:51], s[16:17], -v[216:217]
	v_add_f64_e32 v[38:39], v[219:220], v[38:39]
	v_mul_f64_e32 v[219:220], s[24:25], v[120:121]
	s_delay_alu instid0(VALU_DEP_3) | instskip(NEXT) | instid1(VALU_DEP_2)
	v_add_f64_e32 v[42:43], v[78:79], v[42:43]
	v_fma_f64 v[221:222], v[44:45], s[10:11], -v[219:220]
	v_fma_f64 v[78:79], v[44:45], s[10:11], v[219:220]
	v_lshl_add_u32 v220, v77, 4, 0
	s_delay_alu instid0(VALU_DEP_3) | instskip(SKIP_1) | instid1(VALU_DEP_4)
	v_add_f64_e32 v[36:37], v[221:222], v[36:37]
	v_mul_f64_e32 v[221:222], s[24:25], v[118:119]
	v_add_f64_e32 v[40:41], v[78:79], v[40:41]
	v_mul_f64_e32 v[78:79], s[40:41], v[176:177]
	s_delay_alu instid0(VALU_DEP_3) | instskip(SKIP_1) | instid1(VALU_DEP_2)
	v_fma_f64 v[80:81], v[46:47], s[10:11], -v[221:222]
	v_fma_f64 v[223:224], v[46:47], s[10:11], v[221:222]
	v_add_f64_e32 v[42:43], v[80:81], v[42:43]
	s_delay_alu instid0(VALU_DEP_4) | instskip(SKIP_1) | instid1(VALU_DEP_4)
	v_fma_f64 v[80:81], v[68:69], s[34:35], -v[78:79]
	v_fma_f64 v[78:79], v[68:69], s[34:35], v[78:79]
	v_add_f64_e32 v[38:39], v[223:224], v[38:39]
	s_delay_alu instid0(VALU_DEP_3) | instskip(NEXT) | instid1(VALU_DEP_3)
	v_add_f64_e32 v[80:81], v[80:81], v[229:230]
	v_add_f64_e32 v[78:79], v[78:79], v[208:209]
	s_delay_alu instid0(VALU_DEP_2) | instskip(SKIP_1) | instid1(VALU_DEP_1)
	v_add_f64_e32 v[80:81], v[116:117], v[80:81]
	v_mul_f64_e32 v[116:117], s[20:21], v[166:167]
	v_fma_f64 v[166:167], v[66:67], s[2:3], v[116:117]
	s_delay_alu instid0(VALU_DEP_1) | instskip(SKIP_1) | instid1(VALU_DEP_1)
	v_add_f64_e32 v[86:87], v[166:167], v[86:87]
	v_fma_f64 v[166:167], v[60:61], s[16:17], -v[164:165]
	v_add_f64_e32 v[80:81], v[166:167], v[80:81]
	v_fma_f64 v[166:167], v[62:63], s[16:17], v[160:161]
	s_delay_alu instid0(VALU_DEP_1) | instskip(SKIP_1) | instid1(VALU_DEP_1)
	v_add_f64_e32 v[86:87], v[166:167], v[86:87]
	v_fma_f64 v[166:167], v[56:57], s[6:7], -v[156:157]
	v_add_f64_e32 v[80:81], v[166:167], v[80:81]
	;; [unrolled: 5-line block ×4, first 2 shown]
	v_fma_f64 v[166:167], v[50:51], s[10:11], v[122:123]
	s_delay_alu instid0(VALU_DEP_1) | instskip(SKIP_1) | instid1(VALU_DEP_1)
	v_add_f64_e32 v[86:87], v[166:167], v[86:87]
	v_mul_f64_e32 v[166:167], s[44:45], v[120:121]
	v_fma_f64 v[118:119], v[44:45], s[12:13], -v[166:167]
	s_delay_alu instid0(VALU_DEP_1) | instskip(SKIP_1) | instid1(VALU_DEP_1)
	v_add_f64_e32 v[118:119], v[118:119], v[80:81]
	v_fma_f64 v[80:81], v[46:47], s[12:13], v[168:169]
	v_add_f64_e32 v[120:121], v[80:81], v[86:87]
	v_fma_f64 v[80:81], v[70:71], s[34:35], -v[82:83]
	v_fma_f64 v[82:83], v[64:65], s[2:3], v[114:115]
	v_fma_f64 v[86:87], v[46:47], s[12:13], -v[168:169]
	s_delay_alu instid0(VALU_DEP_3) | instskip(NEXT) | instid1(VALU_DEP_3)
	v_add_f64_e32 v[80:81], v[80:81], v[206:207]
	v_add_f64_e32 v[78:79], v[82:83], v[78:79]
	v_fma_f64 v[82:83], v[66:67], s[2:3], -v[116:117]
	s_delay_alu instid0(VALU_DEP_1) | instskip(SKIP_1) | instid1(VALU_DEP_1)
	v_add_f64_e32 v[80:81], v[82:83], v[80:81]
	v_fma_f64 v[82:83], v[60:61], s[16:17], v[164:165]
	v_add_f64_e32 v[78:79], v[82:83], v[78:79]
	v_fma_f64 v[82:83], v[62:63], s[16:17], -v[160:161]
	s_delay_alu instid0(VALU_DEP_1) | instskip(SKIP_1) | instid1(VALU_DEP_1)
	v_add_f64_e32 v[80:81], v[82:83], v[80:81]
	v_fma_f64 v[82:83], v[56:57], s[6:7], v[156:157]
	;; [unrolled: 5-line block ×4, first 2 shown]
	v_add_f64_e32 v[78:79], v[82:83], v[78:79]
	v_fma_f64 v[82:83], v[50:51], s[10:11], -v[122:123]
	s_delay_alu instid0(VALU_DEP_1) | instskip(SKIP_1) | instid1(VALU_DEP_2)
	v_add_f64_e32 v[80:81], v[82:83], v[80:81]
	v_fma_f64 v[82:83], v[44:45], s[12:13], v[166:167]
	v_add_f64_e32 v[124:125], v[86:87], v[80:81]
	s_delay_alu instid0(VALU_DEP_2) | instskip(SKIP_3) | instid1(VALU_DEP_2)
	v_add_f64_e32 v[122:123], v[82:83], v[78:79]
	scratch_load_b64 v[82:83], off, off offset:64 th:TH_LOAD_LU ; 8-byte Folded Reload
	v_fma_f64 v[78:79], v[68:69], s[0:1], v[233:234]
	v_fma_f64 v[80:81], v[70:71], s[0:1], -v[235:236]
	v_add_f64_e32 v[78:79], v[78:79], v[174:175]
	s_wait_loadcnt 0x0
	s_delay_alu instid0(VALU_DEP_2) | instskip(SKIP_1) | instid1(VALU_DEP_1)
	v_add_f64_e32 v[80:81], v[80:81], v[82:83]
	v_fma_f64 v[82:83], v[64:65], s[10:11], v[210:211]
	v_add_f64_e32 v[78:79], v[82:83], v[78:79]
	v_fma_f64 v[82:83], v[66:67], s[10:11], -v[237:238]
	s_delay_alu instid0(VALU_DEP_1) | instskip(SKIP_1) | instid1(VALU_DEP_1)
	v_add_f64_e32 v[80:81], v[82:83], v[80:81]
	v_fma_f64 v[82:83], v[60:61], s[34:35], v[239:240]
	v_add_f64_e32 v[78:79], v[82:83], v[78:79]
	v_fma_f64 v[82:83], v[62:63], s[34:35], -v[241:242]
	s_delay_alu instid0(VALU_DEP_1) | instskip(SKIP_1) | instid1(VALU_DEP_1)
	;; [unrolled: 5-line block ×4, first 2 shown]
	v_add_f64_e32 v[80:81], v[82:83], v[80:81]
	v_fma_f64 v[82:83], v[48:49], s[6:7], v[251:252]
	v_add_f64_e32 v[78:79], v[82:83], v[78:79]
	v_fma_f64 v[82:83], v[50:51], s[6:7], -v[253:254]
	s_delay_alu instid0(VALU_DEP_2) | instskip(NEXT) | instid1(VALU_DEP_2)
	v_add_f64_e32 v[154:155], v[73:74], v[78:79]
	v_add_f64_e32 v[80:81], v[82:83], v[80:81]
	scratch_load_b64 v[78:79], off, off offset:48 th:TH_LOAD_LU ; 8-byte Folded Reload
	v_fma_f64 v[73:74], v[68:69], s[6:7], v[178:179]
	v_add_f64_e32 v[156:157], v[75:76], v[80:81]
	scratch_load_b64 v[75:76], off, off offset:56 th:TH_LOAD_LU ; 8-byte Folded Reload
	v_fma_f64 v[80:81], v[46:47], s[2:3], -v[204:205]
	s_wait_loadcnt 0x0
	v_add_f64_e32 v[73:74], v[73:74], v[75:76]
	v_fma_f64 v[75:76], v[70:71], s[6:7], -v[180:181]
	s_delay_alu instid0(VALU_DEP_1) | instskip(SKIP_1) | instid1(VALU_DEP_1)
	v_add_f64_e32 v[75:76], v[75:76], v[78:79]
	v_fma_f64 v[78:79], v[64:65], s[0:1], v[182:183]
	v_add_f64_e32 v[73:74], v[78:79], v[73:74]
	v_fma_f64 v[78:79], v[66:67], s[0:1], -v[184:185]
	s_delay_alu instid0(VALU_DEP_1) | instskip(SKIP_1) | instid1(VALU_DEP_1)
	v_add_f64_e32 v[75:76], v[78:79], v[75:76]
	v_fma_f64 v[78:79], v[60:61], s[10:11], v[186:187]
	;; [unrolled: 5-line block ×5, first 2 shown]
	v_add_f64_e32 v[73:74], v[78:79], v[73:74]
	v_fma_f64 v[78:79], v[50:51], s[12:13], -v[200:201]
	s_delay_alu instid0(VALU_DEP_1) | instskip(SKIP_1) | instid1(VALU_DEP_2)
	v_add_f64_e32 v[75:76], v[78:79], v[75:76]
	v_fma_f64 v[78:79], v[44:45], s[2:3], v[202:203]
	v_add_f64_e32 v[116:117], v[80:81], v[75:76]
	scratch_load_b64 v[75:76], off, off offset:40 th:TH_LOAD_LU ; 8-byte Folded Reload
	v_add_f64_e32 v[114:115], v[78:79], v[73:74]
	scratch_load_b64 v[78:79], off, off offset:32 th:TH_LOAD_LU ; 8-byte Folded Reload
	v_fma_f64 v[73:74], v[68:69], s[12:13], v[126:127]
	v_fma_f64 v[68:69], v[68:69], s[16:17], v[84:85]
	v_fma_f64 v[80:81], v[46:47], s[34:35], -v[162:163]
	v_fma_f64 v[46:47], v[46:47], s[0:1], -v[112:113]
	s_wait_loadcnt 0x1
	s_delay_alu instid0(VALU_DEP_4) | instskip(SKIP_3) | instid1(VALU_DEP_2)
	v_add_f64_e32 v[73:74], v[73:74], v[75:76]
	v_fma_f64 v[75:76], v[70:71], s[12:13], -v[130:131]
	v_fma_f64 v[70:71], v[70:71], s[16:17], -v[88:89]
	s_wait_loadcnt 0x0
	v_add_f64_e32 v[75:76], v[75:76], v[78:79]
	v_fma_f64 v[78:79], v[64:65], s[6:7], v[132:133]
	v_fma_f64 v[64:65], v[64:65], s[14:15], v[90:91]
	s_delay_alu instid0(VALU_DEP_2) | instskip(SKIP_2) | instid1(VALU_DEP_2)
	v_add_f64_e32 v[73:74], v[78:79], v[73:74]
	v_fma_f64 v[78:79], v[66:67], s[6:7], -v[134:135]
	v_fma_f64 v[66:67], v[66:67], s[14:15], -v[92:93]
	v_add_f64_e32 v[75:76], v[78:79], v[75:76]
	v_fma_f64 v[78:79], v[60:61], s[0:1], v[136:137]
	v_fma_f64 v[60:61], v[60:61], s[12:13], v[94:95]
	s_delay_alu instid0(VALU_DEP_2) | instskip(SKIP_2) | instid1(VALU_DEP_2)
	v_add_f64_e32 v[73:74], v[78:79], v[73:74]
	v_fma_f64 v[78:79], v[62:63], s[0:1], -v[140:141]
	v_fma_f64 v[62:63], v[62:63], s[12:13], -v[96:97]
	;; [unrolled: 7-line block ×5, first 2 shown]
	v_add_f64_e32 v[75:76], v[78:79], v[75:76]
	v_fma_f64 v[78:79], v[44:45], s[34:35], v[158:159]
	v_fma_f64 v[44:45], v[44:45], s[0:1], v[110:111]
	s_delay_alu instid0(VALU_DEP_3) | instskip(NEXT) | instid1(VALU_DEP_3)
	v_add_f64_e32 v[128:129], v[80:81], v[75:76]
	v_add_f64_e32 v[126:127], v[78:79], v[73:74]
	scratch_load_b64 v[73:74], off, off offset:16 th:TH_LOAD_LU ; 8-byte Folded Reload
	s_wait_loadcnt 0x0
	v_add_f64_e32 v[68:69], v[68:69], v[73:74]
	scratch_load_b64 v[73:74], off, off offset:24 th:TH_LOAD_LU ; 8-byte Folded Reload
	global_wb scope:SCOPE_SE
	s_wait_loadcnt 0x0
	s_wait_storecnt 0x0
	s_barrier_signal -1
	s_barrier_wait -1
	global_inv scope:SCOPE_SE
	v_add_f64_e32 v[64:65], v[64:65], v[68:69]
	s_delay_alu instid0(VALU_DEP_1) | instskip(NEXT) | instid1(VALU_DEP_1)
	v_add_f64_e32 v[60:61], v[60:61], v[64:65]
	v_add_f64_e32 v[56:57], v[56:57], v[60:61]
	s_delay_alu instid0(VALU_DEP_1) | instskip(NEXT) | instid1(VALU_DEP_1)
	v_add_f64_e32 v[52:53], v[52:53], v[56:57]
	v_add_f64_e32 v[48:49], v[48:49], v[52:53]
	s_delay_alu instid0(VALU_DEP_1)
	v_add_f64_e32 v[44:45], v[44:45], v[48:49]
	v_lshl_add_u32 v48, v72, 8, v218
	ds_store_b128 v48, v[0:3]
	ds_store_b128 v48, v[4:7] offset:16
	ds_store_b128 v48, v[8:11] offset:32
	;; [unrolled: 1-line block ×8, first 2 shown]
	v_and_b32_e32 v0, 0xff, v72
	ds_store_b128 v48, v[122:125] offset:144
	ds_store_b128 v48, v[40:43] offset:160
	;; [unrolled: 1-line block ×3, first 2 shown]
	v_mul_lo_u16 v0, 0xf1, v0
	v_add_f64_e32 v[70:71], v[70:71], v[73:74]
	s_delay_alu instid0(VALU_DEP_2) | instskip(NEXT) | instid1(VALU_DEP_1)
	v_lshrrev_b16 v73, 12, v0
	v_mul_lo_u16 v0, v73, 17
	s_delay_alu instid0(VALU_DEP_1) | instskip(NEXT) | instid1(VALU_DEP_1)
	v_sub_nc_u16 v0, v72, v0
	v_and_b32_e32 v221, 0xff, v0
	s_delay_alu instid0(VALU_DEP_1) | instskip(SKIP_1) | instid1(VALU_DEP_1)
	v_lshlrev_b32_e32 v0, 8, v221
	v_add_f64_e32 v[66:67], v[66:67], v[70:71]
	v_add_f64_e32 v[62:63], v[62:63], v[66:67]
	s_delay_alu instid0(VALU_DEP_1) | instskip(NEXT) | instid1(VALU_DEP_1)
	v_add_f64_e32 v[58:59], v[58:59], v[62:63]
	v_add_f64_e32 v[54:55], v[54:55], v[58:59]
	s_delay_alu instid0(VALU_DEP_1) | instskip(NEXT) | instid1(VALU_DEP_1)
	v_add_f64_e32 v[50:51], v[50:51], v[54:55]
	v_add_f64_e32 v[46:47], v[46:47], v[50:51]
	ds_store_b128 v48, v[24:27] offset:192
	ds_store_b128 v48, v[154:157] offset:208
	;; [unrolled: 1-line block ×5, first 2 shown]
	global_wb scope:SCOPE_SE
	s_wait_dscnt 0x0
	s_barrier_signal -1
	s_barrier_wait -1
	global_inv scope:SCOPE_SE
	s_clause 0x3
	global_load_b128 v[1:4], v0, s[4:5]
	global_load_b128 v[5:8], v0, s[4:5] offset:16
	global_load_b128 v[9:12], v0, s[4:5] offset:32
	;; [unrolled: 1-line block ×3, first 2 shown]
	scratch_load_b64 v[250:251], off, off offset:8 ; 8-byte Folded Reload
	ds_load_b128 v[13:16], v220
	s_wait_loadcnt 0x0
	v_lshl_add_u32 v219, v250, 4, 0
	ds_load_b128 v[24:27], v219
	s_wait_dscnt 0x1
	v_mul_f64_e32 v[17:18], v[15:16], v[3:4]
	v_mul_f64_e32 v[3:4], v[13:14], v[3:4]
	s_wait_dscnt 0x0
	v_mul_f64_e32 v[28:29], v[26:27], v[7:8]
	v_mul_f64_e32 v[7:8], v[24:25], v[7:8]
	s_delay_alu instid0(VALU_DEP_4) | instskip(NEXT) | instid1(VALU_DEP_4)
	v_fma_f64 v[13:14], v[13:14], v[1:2], -v[17:18]
	v_fma_f64 v[30:31], v[15:16], v[1:2], v[3:4]
	ds_load_b128 v[1:4], v218 offset:4896
	ds_load_b128 v[106:109], v218
	v_fma_f64 v[16:17], v[24:25], v[5:6], -v[28:29]
	v_fma_f64 v[18:19], v[26:27], v[5:6], v[7:8]
	s_wait_dscnt 0x1
	v_mul_f64_e32 v[24:25], v[3:4], v[11:12]
	v_mul_f64_e32 v[11:12], v[1:2], v[11:12]
	ds_load_b128 v[5:8], v218 offset:6528
	v_fma_f64 v[36:37], v[1:2], v[9:10], -v[24:25]
	v_fma_f64 v[38:39], v[3:4], v[9:10], v[11:12]
	ds_load_b128 v[1:4], v218 offset:8160
	s_wait_dscnt 0x1
	v_mul_f64_e32 v[9:10], v[7:8], v[22:23]
	v_mul_f64_e32 v[11:12], v[5:6], v[22:23]
	s_delay_alu instid0(VALU_DEP_2) | instskip(NEXT) | instid1(VALU_DEP_2)
	v_fma_f64 v[40:41], v[5:6], v[20:21], -v[9:10]
	v_fma_f64 v[42:43], v[7:8], v[20:21], v[11:12]
	s_clause 0x1
	global_load_b128 v[5:8], v0, s[4:5] offset:64
	global_load_b128 v[9:12], v0, s[4:5] offset:80
	s_wait_loadcnt_dscnt 0x100
	v_mul_f64_e32 v[20:21], v[3:4], v[7:8]
	s_delay_alu instid0(VALU_DEP_1) | instskip(SKIP_1) | instid1(VALU_DEP_1)
	v_fma_f64 v[44:45], v[1:2], v[5:6], -v[20:21]
	v_mul_f64_e32 v[1:2], v[1:2], v[7:8]
	v_fma_f64 v[46:47], v[3:4], v[5:6], v[1:2]
	ds_load_b128 v[1:4], v218 offset:9792
	ds_load_b128 v[5:8], v218 offset:11424
	s_wait_loadcnt_dscnt 0x1
	v_mul_f64_e32 v[20:21], v[3:4], v[11:12]
	s_delay_alu instid0(VALU_DEP_1) | instskip(SKIP_1) | instid1(VALU_DEP_1)
	v_fma_f64 v[48:49], v[1:2], v[9:10], -v[20:21]
	v_mul_f64_e32 v[1:2], v[1:2], v[11:12]
	v_fma_f64 v[50:51], v[3:4], v[9:10], v[1:2]
	s_clause 0x1
	global_load_b128 v[1:4], v0, s[4:5] offset:96
	global_load_b128 v[9:12], v0, s[4:5] offset:112
	s_wait_loadcnt_dscnt 0x100
	v_mul_f64_e32 v[20:21], v[7:8], v[3:4]
	v_mul_f64_e32 v[3:4], v[5:6], v[3:4]
	s_delay_alu instid0(VALU_DEP_2) | instskip(NEXT) | instid1(VALU_DEP_2)
	v_fma_f64 v[52:53], v[5:6], v[1:2], -v[20:21]
	v_fma_f64 v[54:55], v[7:8], v[1:2], v[3:4]
	ds_load_b128 v[1:4], v218 offset:13056
	ds_load_b128 v[5:8], v218 offset:14688
	s_wait_loadcnt_dscnt 0x1
	v_mul_f64_e32 v[20:21], v[3:4], v[11:12]
	s_delay_alu instid0(VALU_DEP_1) | instskip(SKIP_1) | instid1(VALU_DEP_1)
	v_fma_f64 v[56:57], v[1:2], v[9:10], -v[20:21]
	v_mul_f64_e32 v[1:2], v[1:2], v[11:12]
	v_fma_f64 v[58:59], v[3:4], v[9:10], v[1:2]
	s_clause 0x1
	global_load_b128 v[1:4], v0, s[4:5] offset:128
	global_load_b128 v[9:12], v0, s[4:5] offset:144
	s_wait_loadcnt_dscnt 0x100
	v_mul_f64_e32 v[20:21], v[7:8], v[3:4]
	v_mul_f64_e32 v[3:4], v[5:6], v[3:4]
	s_delay_alu instid0(VALU_DEP_2) | instskip(NEXT) | instid1(VALU_DEP_2)
	v_fma_f64 v[60:61], v[5:6], v[1:2], -v[20:21]
	v_fma_f64 v[62:63], v[7:8], v[1:2], v[3:4]
	ds_load_b128 v[1:4], v218 offset:16320
	ds_load_b128 v[5:8], v218 offset:17952
	s_wait_loadcnt_dscnt 0x1
	v_mul_f64_e32 v[20:21], v[3:4], v[11:12]
	v_add_f64_e32 v[202:203], v[56:57], v[60:61]
	v_add_f64_e64 v[210:211], v[58:59], -v[62:63]
	v_add_f64_e64 v[212:213], v[56:57], -v[60:61]
	v_add_f64_e32 v[204:205], v[58:59], v[62:63]
	v_fma_f64 v[64:65], v[1:2], v[9:10], -v[20:21]
	v_mul_f64_e32 v[1:2], v[1:2], v[11:12]
	v_mul_f64_e32 v[214:215], s[40:41], v[210:211]
	;; [unrolled: 1-line block ×5, first 2 shown]
	v_add_f64_e32 v[186:187], v[52:53], v[64:65]
	v_fma_f64 v[66:67], v[3:4], v[9:10], v[1:2]
	s_clause 0x1
	global_load_b128 v[1:4], v0, s[4:5] offset:160
	global_load_b128 v[9:12], v0, s[4:5] offset:176
	v_add_f64_e64 v[200:201], v[52:53], -v[64:65]
	v_add_f64_e64 v[198:199], v[54:55], -v[66:67]
	v_add_f64_e32 v[192:193], v[54:55], v[66:67]
	s_delay_alu instid0(VALU_DEP_3) | instskip(NEXT) | instid1(VALU_DEP_3)
	v_mul_f64_e32 v[206:207], s[38:39], v[200:201]
	v_mul_f64_e32 v[208:209], s[38:39], v[198:199]
	s_wait_loadcnt_dscnt 0x100
	v_mul_f64_e32 v[20:21], v[7:8], v[3:4]
	v_mul_f64_e32 v[3:4], v[5:6], v[3:4]
	s_delay_alu instid0(VALU_DEP_2) | instskip(NEXT) | instid1(VALU_DEP_2)
	v_fma_f64 v[68:69], v[5:6], v[1:2], -v[20:21]
	v_fma_f64 v[70:71], v[7:8], v[1:2], v[3:4]
	ds_load_b128 v[1:4], v218 offset:19584
	ds_load_b128 v[5:8], v218 offset:21216
	s_wait_loadcnt_dscnt 0x1
	v_mul_f64_e32 v[20:21], v[3:4], v[11:12]
	v_add_f64_e32 v[166:167], v[48:49], v[68:69]
	v_add_f64_e64 v[182:183], v[50:51], -v[70:71]
	v_add_f64_e64 v[184:185], v[48:49], -v[68:69]
	v_add_f64_e32 v[168:169], v[50:51], v[70:71]
	v_fma_f64 v[78:79], v[1:2], v[9:10], -v[20:21]
	v_mul_f64_e32 v[1:2], v[1:2], v[11:12]
	v_mul_f64_e32 v[196:197], s[46:47], v[182:183]
	;; [unrolled: 1-line block ×3, first 2 shown]
	s_delay_alu instid0(VALU_DEP_4) | instskip(NEXT) | instid1(VALU_DEP_4)
	v_add_f64_e64 v[164:165], v[44:45], -v[78:79]
	v_fma_f64 v[80:81], v[3:4], v[9:10], v[1:2]
	s_clause 0x1
	global_load_b128 v[1:4], v0, s[4:5] offset:192
	global_load_b128 v[9:12], v0, s[4:5] offset:208
	v_mul_f64_e32 v[174:175], s[50:51], v[164:165]
	v_add_f64_e64 v[162:163], v[46:47], -v[80:81]
	s_delay_alu instid0(VALU_DEP_1) | instskip(SKIP_3) | instid1(VALU_DEP_2)
	v_mul_f64_e32 v[180:181], s[50:51], v[162:163]
	s_wait_loadcnt_dscnt 0x100
	v_mul_f64_e32 v[20:21], v[7:8], v[3:4]
	v_mul_f64_e32 v[3:4], v[5:6], v[3:4]
	v_fma_f64 v[82:83], v[5:6], v[1:2], -v[20:21]
	s_delay_alu instid0(VALU_DEP_2) | instskip(SKIP_4) | instid1(VALU_DEP_1)
	v_fma_f64 v[84:85], v[7:8], v[1:2], v[3:4]
	ds_load_b128 v[1:4], v218 offset:22848
	ds_load_b128 v[5:8], v218 offset:24480
	s_wait_loadcnt_dscnt 0x1
	v_mul_f64_e32 v[20:21], v[3:4], v[11:12]
	v_fma_f64 v[86:87], v[1:2], v[9:10], -v[20:21]
	v_mul_f64_e32 v[1:2], v[1:2], v[11:12]
	s_delay_alu instid0(VALU_DEP_1)
	v_fma_f64 v[88:89], v[3:4], v[9:10], v[1:2]
	s_clause 0x1
	global_load_b128 v[1:4], v0, s[4:5] offset:240
	global_load_b128 v[9:12], v0, s[4:5] offset:224
	ds_load_b128 v[20:23], v218 offset:26112
	global_wb scope:SCOPE_SE
	s_wait_loadcnt_dscnt 0x0
	s_barrier_signal -1
	s_barrier_wait -1
	global_inv scope:SCOPE_SE
	v_mul_f64_e32 v[24:25], v[20:21], v[3:4]
	v_mul_f64_e32 v[3:4], v[22:23], v[3:4]
	s_delay_alu instid0(VALU_DEP_2) | instskip(NEXT) | instid1(VALU_DEP_2)
	v_fma_f64 v[90:91], v[22:23], v[1:2], v[24:25]
	v_fma_f64 v[92:93], v[20:21], v[1:2], -v[3:4]
	v_mul_f64_e32 v[0:1], v[7:8], v[11:12]
	s_delay_alu instid0(VALU_DEP_3) | instskip(NEXT) | instid1(VALU_DEP_3)
	v_add_f64_e32 v[122:123], v[30:31], v[90:91]
	v_add_f64_e32 v[24:25], v[13:14], v[92:93]
	s_delay_alu instid0(VALU_DEP_3) | instskip(SKIP_1) | instid1(VALU_DEP_1)
	v_fma_f64 v[94:95], v[5:6], v[9:10], -v[0:1]
	v_mul_f64_e32 v[0:1], v[5:6], v[11:12]
	v_fma_f64 v[96:97], v[7:8], v[9:10], v[0:1]
	v_add_f64_e64 v[0:1], v[30:31], -v[90:91]
	s_delay_alu instid0(VALU_DEP_1)
	v_mul_f64_e32 v[2:3], s[36:37], v[0:1]
	v_mul_f64_e32 v[4:5], s[30:31], v[0:1]
	;; [unrolled: 1-line block ×8, first 2 shown]
	v_fma_f64 v[26:27], v[24:25], s[34:35], -v[2:3]
	v_fma_f64 v[2:3], v[24:25], s[34:35], v[2:3]
	v_fma_f64 v[28:29], v[24:25], s[16:17], -v[4:5]
	v_fma_f64 v[4:5], v[24:25], s[16:17], v[4:5]
	;; [unrolled: 2-line block ×3, first 2 shown]
	v_fma_f64 v[34:35], v[24:25], s[12:13], -v[8:9]
	v_fma_f64 v[118:119], v[24:25], s[0:1], -v[0:1]
	v_fma_f64 v[120:121], v[24:25], s[0:1], v[0:1]
	v_add_f64_e64 v[0:1], v[13:14], -v[92:93]
	v_fma_f64 v[8:9], v[24:25], s[12:13], v[8:9]
	v_fma_f64 v[74:75], v[24:25], s[10:11], -v[10:11]
	v_fma_f64 v[10:11], v[24:25], s[10:11], v[10:11]
	v_fma_f64 v[114:115], v[24:25], s[6:7], -v[20:21]
	;; [unrolled: 2-line block ×3, first 2 shown]
	v_fma_f64 v[22:23], v[24:25], s[2:3], v[22:23]
	v_add_f64_e32 v[152:153], v[106:107], v[118:119]
	v_add_f64_e32 v[118:119], v[36:37], v[86:87]
	v_mul_f64_e32 v[24:25], s[36:37], v[0:1]
	v_mul_f64_e32 v[100:101], s[28:29], v[0:1]
	;; [unrolled: 1-line block ×8, first 2 shown]
	v_add_f64_e32 v[190:191], v[106:107], v[114:115]
	v_add_f64_e64 v[114:115], v[18:19], -v[96:97]
	v_add_f64_e32 v[10:11], v[106:107], v[10:11]
	v_add_f64_e32 v[178:179], v[106:107], v[20:21]
	;; [unrolled: 1-line block ×4, first 2 shown]
	v_add_f64_e64 v[116:117], v[16:17], -v[94:95]
	v_fma_f64 v[124:125], v[122:123], s[34:35], v[24:25]
	v_fma_f64 v[132:133], v[122:123], s[14:15], -v[100:101]
	v_fma_f64 v[140:141], v[122:123], s[10:11], -v[104:105]
	;; [unrolled: 1-line block ×3, first 2 shown]
	v_fma_f64 v[126:127], v[122:123], s[16:17], v[98:99]
	v_fma_f64 v[128:129], v[122:123], s[16:17], -v[98:99]
	v_fma_f64 v[130:131], v[122:123], s[14:15], v[100:101]
	v_fma_f64 v[134:135], v[122:123], s[12:13], v[102:103]
	v_fma_f64 v[136:137], v[122:123], s[12:13], -v[102:103]
	v_fma_f64 v[138:139], v[122:123], s[10:11], v[104:105]
	;; [unrolled: 3-line block ×3, first 2 shown]
	v_fma_f64 v[148:149], v[122:123], s[2:3], -v[112:113]
	v_fma_f64 v[150:151], v[122:123], s[0:1], v[0:1]
	v_fma_f64 v[122:123], v[122:123], s[0:1], -v[0:1]
	v_add_f64_e32 v[102:103], v[106:107], v[13:14]
	v_add_f64_e32 v[104:105], v[108:109], v[30:31]
	;; [unrolled: 1-line block ×16, first 2 shown]
	v_mul_f64_e32 v[132:133], s[26:27], v[114:115]
	v_add_f64_e32 v[100:101], v[108:109], v[24:25]
	v_add_f64_e32 v[126:127], v[108:109], v[126:127]
	;; [unrolled: 1-line block ×14, first 2 shown]
	v_add_f64_e64 v[122:123], v[38:39], -v[88:89]
	v_add_f64_e32 v[120:121], v[38:39], v[88:89]
	v_add_f64_e64 v[138:139], v[42:43], -v[84:85]
	v_add_f64_e32 v[128:129], v[40:41], v[82:83]
	;; [unrolled: 2-line block ×3, first 2 shown]
	v_add_f64_e32 v[146:147], v[44:45], v[78:79]
	v_add_f64_e32 v[148:149], v[46:47], v[80:81]
	v_add_f64_e32 v[16:17], v[102:103], v[16:17]
	v_add_f64_e32 v[18:19], v[104:105], v[18:19]
	v_fma_f64 v[20:21], v[106:107], s[12:13], -v[132:133]
	v_mul_f64_e32 v[142:143], s[22:23], v[122:123]
	v_mul_f64_e32 v[160:161], s[18:19], v[138:139]
	;; [unrolled: 1-line block ×3, first 2 shown]
	v_add_f64_e32 v[16:17], v[16:17], v[36:37]
	v_add_f64_e32 v[18:19], v[18:19], v[38:39]
	;; [unrolled: 1-line block ×3, first 2 shown]
	v_mul_f64_e32 v[124:125], s[26:27], v[116:117]
	v_fma_f64 v[74:75], v[118:119], s[6:7], -v[142:143]
	v_add_f64_e32 v[16:17], v[16:17], v[40:41]
	v_add_f64_e32 v[18:19], v[18:19], v[42:43]
	s_delay_alu instid0(VALU_DEP_4) | instskip(NEXT) | instid1(VALU_DEP_4)
	v_fma_f64 v[22:23], v[108:109], s[12:13], v[124:125]
	v_add_f64_e32 v[20:21], v[74:75], v[20:21]
	s_delay_alu instid0(VALU_DEP_4) | instskip(NEXT) | instid1(VALU_DEP_4)
	v_add_f64_e32 v[16:17], v[16:17], v[44:45]
	v_add_f64_e32 v[18:19], v[18:19], v[46:47]
	s_delay_alu instid0(VALU_DEP_4) | instskip(SKIP_1) | instid1(VALU_DEP_4)
	v_add_f64_e32 v[22:23], v[22:23], v[126:127]
	v_add_f64_e64 v[126:127], v[36:37], -v[86:87]
	v_add_f64_e32 v[16:17], v[16:17], v[48:49]
	s_delay_alu instid0(VALU_DEP_4) | instskip(NEXT) | instid1(VALU_DEP_3)
	v_add_f64_e32 v[18:19], v[18:19], v[50:51]
	v_mul_f64_e32 v[134:135], s[22:23], v[126:127]
	s_delay_alu instid0(VALU_DEP_3) | instskip(NEXT) | instid1(VALU_DEP_3)
	v_add_f64_e32 v[16:17], v[16:17], v[52:53]
	v_add_f64_e32 v[18:19], v[18:19], v[54:55]
	s_delay_alu instid0(VALU_DEP_3) | instskip(NEXT) | instid1(VALU_DEP_3)
	v_fma_f64 v[74:75], v[120:121], s[6:7], v[134:135]
	v_add_f64_e32 v[16:17], v[16:17], v[56:57]
	s_delay_alu instid0(VALU_DEP_3) | instskip(NEXT) | instid1(VALU_DEP_3)
	v_add_f64_e32 v[18:19], v[18:19], v[58:59]
	v_add_f64_e32 v[22:23], v[74:75], v[22:23]
	v_fma_f64 v[74:75], v[128:129], s[0:1], -v[160:161]
	s_delay_alu instid0(VALU_DEP_4) | instskip(NEXT) | instid1(VALU_DEP_4)
	v_add_f64_e32 v[16:17], v[16:17], v[60:61]
	v_add_f64_e32 v[18:19], v[18:19], v[62:63]
	s_delay_alu instid0(VALU_DEP_3) | instskip(SKIP_1) | instid1(VALU_DEP_4)
	v_add_f64_e32 v[20:21], v[74:75], v[20:21]
	v_fma_f64 v[74:75], v[130:131], s[0:1], v[154:155]
	v_add_f64_e32 v[16:17], v[16:17], v[64:65]
	s_delay_alu instid0(VALU_DEP_4) | instskip(NEXT) | instid1(VALU_DEP_3)
	v_add_f64_e32 v[18:19], v[18:19], v[66:67]
	v_add_f64_e32 v[22:23], v[74:75], v[22:23]
	v_fma_f64 v[74:75], v[146:147], s[2:3], -v[180:181]
	s_delay_alu instid0(VALU_DEP_4) | instskip(NEXT) | instid1(VALU_DEP_4)
	v_add_f64_e32 v[16:17], v[16:17], v[68:69]
	v_add_f64_e32 v[18:19], v[18:19], v[70:71]
	s_delay_alu instid0(VALU_DEP_3) | instskip(SKIP_1) | instid1(VALU_DEP_4)
	v_add_f64_e32 v[20:21], v[74:75], v[20:21]
	v_fma_f64 v[74:75], v[148:149], s[2:3], v[174:175]
	v_add_f64_e32 v[16:17], v[16:17], v[78:79]
	s_delay_alu instid0(VALU_DEP_4) | instskip(NEXT) | instid1(VALU_DEP_3)
	v_add_f64_e32 v[18:19], v[18:19], v[80:81]
	v_add_f64_e32 v[22:23], v[74:75], v[22:23]
	v_fma_f64 v[74:75], v[166:167], s[10:11], -v[196:197]
	s_delay_alu instid0(VALU_DEP_4) | instskip(NEXT) | instid1(VALU_DEP_4)
	v_add_f64_e32 v[16:17], v[16:17], v[82:83]
	v_add_f64_e32 v[18:19], v[18:19], v[84:85]
	s_delay_alu instid0(VALU_DEP_3) | instskip(SKIP_1) | instid1(VALU_DEP_4)
	v_add_f64_e32 v[20:21], v[74:75], v[20:21]
	v_fma_f64 v[74:75], v[168:169], s[10:11], v[194:195]
	v_add_f64_e32 v[16:17], v[16:17], v[86:87]
	s_delay_alu instid0(VALU_DEP_4) | instskip(NEXT) | instid1(VALU_DEP_3)
	v_add_f64_e32 v[18:19], v[18:19], v[88:89]
	v_add_f64_e32 v[22:23], v[74:75], v[22:23]
	v_fma_f64 v[74:75], v[186:187], s[14:15], -v[208:209]
	s_delay_alu instid0(VALU_DEP_4) | instskip(NEXT) | instid1(VALU_DEP_4)
	v_add_f64_e32 v[16:17], v[16:17], v[94:95]
	v_add_f64_e32 v[18:19], v[18:19], v[96:97]
	s_delay_alu instid0(VALU_DEP_3) | instskip(SKIP_1) | instid1(VALU_DEP_4)
	v_add_f64_e32 v[20:21], v[74:75], v[20:21]
	v_fma_f64 v[74:75], v[192:193], s[14:15], v[206:207]
	v_add_f64_e32 v[36:37], v[16:17], v[92:93]
	s_delay_alu instid0(VALU_DEP_4) | instskip(NEXT) | instid1(VALU_DEP_3)
	v_add_f64_e32 v[38:39], v[18:19], v[90:91]
	v_add_f64_e32 v[22:23], v[74:75], v[22:23]
	v_fma_f64 v[74:75], v[202:203], s[34:35], -v[214:215]
	s_delay_alu instid0(VALU_DEP_1) | instskip(SKIP_1) | instid1(VALU_DEP_1)
	v_add_f64_e32 v[20:21], v[74:75], v[20:21]
	v_fma_f64 v[74:75], v[204:205], s[34:35], v[216:217]
	v_add_f64_e32 v[22:23], v[74:75], v[22:23]
	v_mul_f64_e32 v[74:75], s[22:23], v[114:115]
	s_delay_alu instid0(VALU_DEP_1) | instskip(SKIP_1) | instid1(VALU_DEP_2)
	v_fma_f64 v[222:223], v[106:107], s[6:7], -v[74:75]
	v_fma_f64 v[74:75], v[106:107], s[6:7], v[74:75]
	v_add_f64_e32 v[26:27], v[222:223], v[26:27]
	v_mul_f64_e32 v[222:223], s[22:23], v[116:117]
	s_delay_alu instid0(VALU_DEP_3) | instskip(NEXT) | instid1(VALU_DEP_2)
	v_add_f64_e32 v[2:3], v[74:75], v[2:3]
	v_fma_f64 v[224:225], v[108:109], s[6:7], v[222:223]
	v_fma_f64 v[74:75], v[108:109], s[6:7], -v[222:223]
	v_fma_f64 v[222:223], v[204:205], s[2:3], -v[248:249]
	s_delay_alu instid0(VALU_DEP_3) | instskip(SKIP_1) | instid1(VALU_DEP_4)
	v_add_f64_e32 v[24:25], v[224:225], v[24:25]
	v_mul_f64_e32 v[224:225], s[52:53], v[122:123]
	v_add_f64_e32 v[0:1], v[74:75], v[0:1]
	s_delay_alu instid0(VALU_DEP_2) | instskip(SKIP_1) | instid1(VALU_DEP_2)
	v_fma_f64 v[226:227], v[118:119], s[0:1], -v[224:225]
	v_fma_f64 v[74:75], v[118:119], s[0:1], v[224:225]
	v_add_f64_e32 v[26:27], v[226:227], v[26:27]
	v_mul_f64_e32 v[226:227], s[52:53], v[126:127]
	s_delay_alu instid0(VALU_DEP_3) | instskip(NEXT) | instid1(VALU_DEP_2)
	v_add_f64_e32 v[2:3], v[74:75], v[2:3]
	v_fma_f64 v[228:229], v[120:121], s[0:1], v[226:227]
	v_fma_f64 v[74:75], v[120:121], s[0:1], -v[226:227]
	s_delay_alu instid0(VALU_DEP_2) | instskip(SKIP_1) | instid1(VALU_DEP_3)
	v_add_f64_e32 v[24:25], v[228:229], v[24:25]
	v_mul_f64_e32 v[228:229], s[46:47], v[138:139]
	v_add_f64_e32 v[0:1], v[74:75], v[0:1]
	s_delay_alu instid0(VALU_DEP_2) | instskip(SKIP_1) | instid1(VALU_DEP_2)
	v_fma_f64 v[230:231], v[128:129], s[10:11], -v[228:229]
	v_fma_f64 v[74:75], v[128:129], s[10:11], v[228:229]
	v_add_f64_e32 v[26:27], v[230:231], v[26:27]
	v_mul_f64_e32 v[230:231], s[46:47], v[144:145]
	s_delay_alu instid0(VALU_DEP_3) | instskip(NEXT) | instid1(VALU_DEP_2)
	v_add_f64_e32 v[2:3], v[74:75], v[2:3]
	v_fma_f64 v[232:233], v[130:131], s[10:11], v[230:231]
	v_fma_f64 v[74:75], v[130:131], s[10:11], -v[230:231]
	s_delay_alu instid0(VALU_DEP_2) | instskip(SKIP_1) | instid1(VALU_DEP_3)
	;; [unrolled: 13-line block ×4, first 2 shown]
	v_add_f64_e32 v[24:25], v[240:241], v[24:25]
	v_mul_f64_e32 v[240:241], s[26:27], v[198:199]
	v_add_f64_e32 v[0:1], v[74:75], v[0:1]
	s_delay_alu instid0(VALU_DEP_2) | instskip(SKIP_1) | instid1(VALU_DEP_2)
	v_fma_f64 v[242:243], v[186:187], s[12:13], -v[240:241]
	v_fma_f64 v[74:75], v[186:187], s[12:13], v[240:241]
	v_add_f64_e32 v[26:27], v[242:243], v[26:27]
	v_mul_f64_e32 v[242:243], s[26:27], v[200:201]
	s_delay_alu instid0(VALU_DEP_3) | instskip(NEXT) | instid1(VALU_DEP_2)
	v_add_f64_e32 v[2:3], v[74:75], v[2:3]
	v_fma_f64 v[74:75], v[192:193], s[12:13], -v[242:243]
	v_fma_f64 v[244:245], v[192:193], s[12:13], v[242:243]
	s_delay_alu instid0(VALU_DEP_2) | instskip(SKIP_1) | instid1(VALU_DEP_3)
	v_add_f64_e32 v[74:75], v[74:75], v[0:1]
	v_fma_f64 v[0:1], v[202:203], s[2:3], v[246:247]
	v_add_f64_e32 v[244:245], v[244:245], v[24:25]
	v_fma_f64 v[24:25], v[202:203], s[2:3], -v[246:247]
	v_mul_f64_e32 v[246:247], s[42:43], v[210:211]
	s_delay_alu instid0(VALU_DEP_4)
	v_add_f64_e32 v[0:1], v[0:1], v[2:3]
	v_add_f64_e32 v[2:3], v[222:223], v[74:75]
	v_mul_f64_e32 v[74:75], s[18:19], v[114:115]
	v_add_f64_e32 v[24:25], v[24:25], v[26:27]
	v_fma_f64 v[26:27], v[204:205], s[2:3], v[248:249]
	v_mul_f64_e32 v[248:249], s[42:43], v[212:213]
	s_delay_alu instid0(VALU_DEP_4) | instskip(SKIP_1) | instid1(VALU_DEP_4)
	v_fma_f64 v[222:223], v[106:107], s[0:1], -v[74:75]
	v_fma_f64 v[74:75], v[106:107], s[0:1], v[74:75]
	v_add_f64_e32 v[26:27], v[26:27], v[244:245]
	s_delay_alu instid0(VALU_DEP_3) | instskip(SKIP_1) | instid1(VALU_DEP_4)
	v_add_f64_e32 v[30:31], v[222:223], v[30:31]
	v_mul_f64_e32 v[222:223], s[18:19], v[116:117]
	v_add_f64_e32 v[6:7], v[74:75], v[6:7]
	s_delay_alu instid0(VALU_DEP_2) | instskip(SKIP_2) | instid1(VALU_DEP_3)
	v_fma_f64 v[224:225], v[108:109], s[0:1], v[222:223]
	v_fma_f64 v[74:75], v[108:109], s[0:1], -v[222:223]
	v_fma_f64 v[222:223], v[204:205], s[16:17], -v[248:249]
	v_add_f64_e32 v[28:29], v[224:225], v[28:29]
	v_mul_f64_e32 v[224:225], s[46:47], v[122:123]
	s_delay_alu instid0(VALU_DEP_4) | instskip(NEXT) | instid1(VALU_DEP_2)
	v_add_f64_e32 v[4:5], v[74:75], v[4:5]
	v_fma_f64 v[226:227], v[118:119], s[10:11], -v[224:225]
	v_fma_f64 v[74:75], v[118:119], s[10:11], v[224:225]
	s_delay_alu instid0(VALU_DEP_2) | instskip(SKIP_1) | instid1(VALU_DEP_3)
	v_add_f64_e32 v[30:31], v[226:227], v[30:31]
	v_mul_f64_e32 v[226:227], s[46:47], v[126:127]
	v_add_f64_e32 v[6:7], v[74:75], v[6:7]
	s_delay_alu instid0(VALU_DEP_2) | instskip(SKIP_1) | instid1(VALU_DEP_2)
	v_fma_f64 v[228:229], v[120:121], s[10:11], v[226:227]
	v_fma_f64 v[74:75], v[120:121], s[10:11], -v[226:227]
	v_add_f64_e32 v[28:29], v[228:229], v[28:29]
	v_mul_f64_e32 v[228:229], s[40:41], v[138:139]
	s_delay_alu instid0(VALU_DEP_3) | instskip(NEXT) | instid1(VALU_DEP_2)
	v_add_f64_e32 v[4:5], v[74:75], v[4:5]
	v_fma_f64 v[230:231], v[128:129], s[34:35], -v[228:229]
	v_fma_f64 v[74:75], v[128:129], s[34:35], v[228:229]
	s_delay_alu instid0(VALU_DEP_2) | instskip(SKIP_1) | instid1(VALU_DEP_3)
	v_add_f64_e32 v[30:31], v[230:231], v[30:31]
	v_mul_f64_e32 v[230:231], s[40:41], v[144:145]
	v_add_f64_e32 v[6:7], v[74:75], v[6:7]
	s_delay_alu instid0(VALU_DEP_2) | instskip(SKIP_1) | instid1(VALU_DEP_2)
	v_fma_f64 v[232:233], v[130:131], s[34:35], v[230:231]
	v_fma_f64 v[74:75], v[130:131], s[34:35], -v[230:231]
	v_add_f64_e32 v[28:29], v[232:233], v[28:29]
	v_mul_f64_e32 v[232:233], s[28:29], v[162:163]
	s_delay_alu instid0(VALU_DEP_3) | instskip(NEXT) | instid1(VALU_DEP_2)
	;; [unrolled: 13-line block ×4, first 2 shown]
	v_add_f64_e32 v[4:5], v[74:75], v[4:5]
	v_fma_f64 v[242:243], v[186:187], s[6:7], -v[240:241]
	v_fma_f64 v[74:75], v[186:187], s[6:7], v[240:241]
	s_delay_alu instid0(VALU_DEP_2) | instskip(SKIP_1) | instid1(VALU_DEP_3)
	v_add_f64_e32 v[30:31], v[242:243], v[30:31]
	v_mul_f64_e32 v[242:243], s[48:49], v[200:201]
	v_add_f64_e32 v[6:7], v[74:75], v[6:7]
	s_delay_alu instid0(VALU_DEP_2) | instskip(SKIP_1) | instid1(VALU_DEP_2)
	v_fma_f64 v[74:75], v[192:193], s[6:7], -v[242:243]
	v_fma_f64 v[244:245], v[192:193], s[6:7], v[242:243]
	v_add_f64_e32 v[74:75], v[74:75], v[4:5]
	v_fma_f64 v[4:5], v[202:203], s[16:17], v[246:247]
	s_delay_alu instid0(VALU_DEP_3) | instskip(SKIP_2) | instid1(VALU_DEP_4)
	v_add_f64_e32 v[244:245], v[244:245], v[28:29]
	v_fma_f64 v[28:29], v[202:203], s[16:17], -v[246:247]
	v_mul_f64_e32 v[246:247], s[22:23], v[210:211]
	v_add_f64_e32 v[4:5], v[4:5], v[6:7]
	v_add_f64_e32 v[6:7], v[222:223], v[74:75]
	v_mul_f64_e32 v[74:75], s[50:51], v[114:115]
	v_add_f64_e32 v[28:29], v[28:29], v[30:31]
	v_fma_f64 v[30:31], v[204:205], s[16:17], v[248:249]
	v_mul_f64_e32 v[248:249], s[22:23], v[212:213]
	s_delay_alu instid0(VALU_DEP_4) | instskip(SKIP_1) | instid1(VALU_DEP_4)
	v_fma_f64 v[222:223], v[106:107], s[2:3], -v[74:75]
	v_fma_f64 v[74:75], v[106:107], s[2:3], v[74:75]
	v_add_f64_e32 v[30:31], v[30:31], v[244:245]
	s_delay_alu instid0(VALU_DEP_3) | instskip(SKIP_1) | instid1(VALU_DEP_4)
	v_add_f64_e32 v[34:35], v[222:223], v[34:35]
	v_mul_f64_e32 v[222:223], s[50:51], v[116:117]
	v_add_f64_e32 v[10:11], v[74:75], v[10:11]
	s_delay_alu instid0(VALU_DEP_2) | instskip(SKIP_2) | instid1(VALU_DEP_3)
	v_fma_f64 v[224:225], v[108:109], s[2:3], v[222:223]
	v_fma_f64 v[74:75], v[108:109], s[2:3], -v[222:223]
	v_fma_f64 v[222:223], v[204:205], s[6:7], -v[248:249]
	v_add_f64_e32 v[32:33], v[224:225], v[32:33]
	v_mul_f64_e32 v[224:225], s[42:43], v[122:123]
	s_delay_alu instid0(VALU_DEP_4) | instskip(NEXT) | instid1(VALU_DEP_2)
	v_add_f64_e32 v[8:9], v[74:75], v[8:9]
	v_fma_f64 v[226:227], v[118:119], s[16:17], -v[224:225]
	v_fma_f64 v[74:75], v[118:119], s[16:17], v[224:225]
	s_delay_alu instid0(VALU_DEP_2) | instskip(SKIP_1) | instid1(VALU_DEP_3)
	v_add_f64_e32 v[34:35], v[226:227], v[34:35]
	v_mul_f64_e32 v[226:227], s[42:43], v[126:127]
	v_add_f64_e32 v[10:11], v[74:75], v[10:11]
	s_delay_alu instid0(VALU_DEP_2) | instskip(SKIP_1) | instid1(VALU_DEP_2)
	v_fma_f64 v[228:229], v[120:121], s[16:17], v[226:227]
	v_fma_f64 v[74:75], v[120:121], s[16:17], -v[226:227]
	v_add_f64_e32 v[32:33], v[228:229], v[32:33]
	v_mul_f64_e32 v[228:229], s[28:29], v[138:139]
	s_delay_alu instid0(VALU_DEP_3) | instskip(NEXT) | instid1(VALU_DEP_2)
	v_add_f64_e32 v[8:9], v[74:75], v[8:9]
	v_fma_f64 v[230:231], v[128:129], s[14:15], -v[228:229]
	v_fma_f64 v[74:75], v[128:129], s[14:15], v[228:229]
	s_delay_alu instid0(VALU_DEP_2) | instskip(SKIP_1) | instid1(VALU_DEP_3)
	v_add_f64_e32 v[34:35], v[230:231], v[34:35]
	v_mul_f64_e32 v[230:231], s[28:29], v[144:145]
	v_add_f64_e32 v[10:11], v[74:75], v[10:11]
	s_delay_alu instid0(VALU_DEP_2) | instskip(SKIP_1) | instid1(VALU_DEP_2)
	v_fma_f64 v[232:233], v[130:131], s[14:15], v[230:231]
	v_fma_f64 v[74:75], v[130:131], s[14:15], -v[230:231]
	v_add_f64_e32 v[32:33], v[232:233], v[32:33]
	v_mul_f64_e32 v[232:233], s[18:19], v[162:163]
	s_delay_alu instid0(VALU_DEP_3) | instskip(NEXT) | instid1(VALU_DEP_2)
	;; [unrolled: 13-line block ×4, first 2 shown]
	v_add_f64_e32 v[8:9], v[74:75], v[8:9]
	v_fma_f64 v[242:243], v[186:187], s[34:35], -v[240:241]
	v_fma_f64 v[74:75], v[186:187], s[34:35], v[240:241]
	s_delay_alu instid0(VALU_DEP_2) | instskip(SKIP_1) | instid1(VALU_DEP_3)
	v_add_f64_e32 v[34:35], v[242:243], v[34:35]
	v_mul_f64_e32 v[242:243], s[36:37], v[200:201]
	v_add_f64_e32 v[10:11], v[74:75], v[10:11]
	s_delay_alu instid0(VALU_DEP_2) | instskip(SKIP_1) | instid1(VALU_DEP_2)
	v_fma_f64 v[74:75], v[192:193], s[34:35], -v[242:243]
	v_fma_f64 v[244:245], v[192:193], s[34:35], v[242:243]
	v_add_f64_e32 v[74:75], v[74:75], v[8:9]
	v_fma_f64 v[8:9], v[202:203], s[6:7], v[246:247]
	s_delay_alu instid0(VALU_DEP_3) | instskip(SKIP_2) | instid1(VALU_DEP_4)
	v_add_f64_e32 v[244:245], v[244:245], v[32:33]
	v_fma_f64 v[32:33], v[202:203], s[6:7], -v[246:247]
	v_mul_f64_e32 v[246:247], s[38:39], v[210:211]
	v_add_f64_e32 v[8:9], v[8:9], v[10:11]
	v_add_f64_e32 v[10:11], v[222:223], v[74:75]
	v_mul_f64_e32 v[74:75], s[46:47], v[114:115]
	v_add_f64_e32 v[32:33], v[32:33], v[34:35]
	v_fma_f64 v[34:35], v[204:205], s[6:7], v[248:249]
	v_mul_f64_e32 v[248:249], s[38:39], v[212:213]
	s_delay_alu instid0(VALU_DEP_4) | instskip(SKIP_1) | instid1(VALU_DEP_4)
	v_fma_f64 v[222:223], v[106:107], s[10:11], -v[74:75]
	v_fma_f64 v[74:75], v[106:107], s[10:11], v[74:75]
	v_add_f64_e32 v[34:35], v[34:35], v[244:245]
	s_delay_alu instid0(VALU_DEP_3) | instskip(SKIP_1) | instid1(VALU_DEP_4)
	v_add_f64_e32 v[190:191], v[222:223], v[190:191]
	v_mul_f64_e32 v[222:223], s[46:47], v[116:117]
	v_add_f64_e32 v[74:75], v[74:75], v[178:179]
	s_delay_alu instid0(VALU_DEP_2) | instskip(SKIP_2) | instid1(VALU_DEP_3)
	v_fma_f64 v[224:225], v[108:109], s[10:11], v[222:223]
	v_fma_f64 v[178:179], v[108:109], s[10:11], -v[222:223]
	v_fma_f64 v[222:223], v[204:205], s[14:15], -v[248:249]
	v_add_f64_e32 v[188:189], v[224:225], v[188:189]
	v_mul_f64_e32 v[224:225], s[36:37], v[122:123]
	s_delay_alu instid0(VALU_DEP_4) | instskip(NEXT) | instid1(VALU_DEP_2)
	v_add_f64_e32 v[176:177], v[178:179], v[176:177]
	v_fma_f64 v[226:227], v[118:119], s[34:35], -v[224:225]
	v_fma_f64 v[178:179], v[118:119], s[34:35], v[224:225]
	s_delay_alu instid0(VALU_DEP_2) | instskip(SKIP_1) | instid1(VALU_DEP_3)
	v_add_f64_e32 v[190:191], v[226:227], v[190:191]
	v_mul_f64_e32 v[226:227], s[36:37], v[126:127]
	v_add_f64_e32 v[74:75], v[178:179], v[74:75]
	s_delay_alu instid0(VALU_DEP_2) | instskip(SKIP_1) | instid1(VALU_DEP_2)
	v_fma_f64 v[228:229], v[120:121], s[34:35], v[226:227]
	v_fma_f64 v[178:179], v[120:121], s[34:35], -v[226:227]
	v_add_f64_e32 v[188:189], v[228:229], v[188:189]
	v_mul_f64_e32 v[228:229], s[20:21], v[138:139]
	s_delay_alu instid0(VALU_DEP_3) | instskip(NEXT) | instid1(VALU_DEP_2)
	v_add_f64_e32 v[176:177], v[178:179], v[176:177]
	v_fma_f64 v[230:231], v[128:129], s[2:3], -v[228:229]
	v_fma_f64 v[178:179], v[128:129], s[2:3], v[228:229]
	s_delay_alu instid0(VALU_DEP_2) | instskip(SKIP_1) | instid1(VALU_DEP_3)
	v_add_f64_e32 v[190:191], v[230:231], v[190:191]
	v_mul_f64_e32 v[230:231], s[20:21], v[144:145]
	v_add_f64_e32 v[74:75], v[178:179], v[74:75]
	s_delay_alu instid0(VALU_DEP_2) | instskip(SKIP_1) | instid1(VALU_DEP_2)
	v_fma_f64 v[232:233], v[130:131], s[2:3], v[230:231]
	v_fma_f64 v[178:179], v[130:131], s[2:3], -v[230:231]
	v_add_f64_e32 v[188:189], v[232:233], v[188:189]
	v_mul_f64_e32 v[232:233], s[44:45], v[162:163]
	s_delay_alu instid0(VALU_DEP_3) | instskip(NEXT) | instid1(VALU_DEP_2)
	;; [unrolled: 13-line block ×4, first 2 shown]
	v_add_f64_e32 v[176:177], v[178:179], v[176:177]
	v_fma_f64 v[242:243], v[186:187], s[0:1], -v[240:241]
	v_fma_f64 v[178:179], v[186:187], s[0:1], v[240:241]
	s_delay_alu instid0(VALU_DEP_2) | instskip(SKIP_1) | instid1(VALU_DEP_3)
	v_add_f64_e32 v[190:191], v[242:243], v[190:191]
	v_mul_f64_e32 v[242:243], s[18:19], v[200:201]
	v_add_f64_e32 v[74:75], v[178:179], v[74:75]
	s_delay_alu instid0(VALU_DEP_2) | instskip(SKIP_1) | instid1(VALU_DEP_2)
	v_fma_f64 v[178:179], v[192:193], s[0:1], -v[242:243]
	v_fma_f64 v[244:245], v[192:193], s[0:1], v[242:243]
	v_add_f64_e32 v[178:179], v[178:179], v[176:177]
	v_fma_f64 v[176:177], v[202:203], s[14:15], v[246:247]
	s_delay_alu instid0(VALU_DEP_3)
	v_add_f64_e32 v[244:245], v[244:245], v[188:189]
	v_fma_f64 v[188:189], v[202:203], s[14:15], -v[246:247]
	v_mul_f64_e32 v[246:247], s[24:25], v[210:211]
	v_add_f64_e32 v[178:179], v[222:223], v[178:179]
	v_add_f64_e32 v[176:177], v[176:177], v[74:75]
	v_mul_f64_e32 v[74:75], s[38:39], v[114:115]
	v_add_f64_e32 v[188:189], v[188:189], v[190:191]
	v_fma_f64 v[190:191], v[204:205], s[14:15], v[248:249]
	v_mul_f64_e32 v[248:249], s[24:25], v[212:213]
	s_delay_alu instid0(VALU_DEP_4) | instskip(SKIP_1) | instid1(VALU_DEP_4)
	v_fma_f64 v[222:223], v[106:107], s[14:15], -v[74:75]
	v_fma_f64 v[74:75], v[106:107], s[14:15], v[74:75]
	v_add_f64_e32 v[190:191], v[190:191], v[244:245]
	s_delay_alu instid0(VALU_DEP_3) | instskip(SKIP_1) | instid1(VALU_DEP_4)
	v_add_f64_e32 v[172:173], v[222:223], v[172:173]
	v_mul_f64_e32 v[222:223], s[38:39], v[116:117]
	v_add_f64_e32 v[74:75], v[74:75], v[158:159]
	s_delay_alu instid0(VALU_DEP_2) | instskip(SKIP_2) | instid1(VALU_DEP_3)
	v_fma_f64 v[224:225], v[108:109], s[14:15], v[222:223]
	v_fma_f64 v[158:159], v[108:109], s[14:15], -v[222:223]
	v_fma_f64 v[222:223], v[204:205], s[10:11], -v[248:249]
	v_add_f64_e32 v[170:171], v[224:225], v[170:171]
	v_mul_f64_e32 v[224:225], s[26:27], v[122:123]
	s_delay_alu instid0(VALU_DEP_4) | instskip(NEXT) | instid1(VALU_DEP_2)
	v_add_f64_e32 v[156:157], v[158:159], v[156:157]
	v_fma_f64 v[226:227], v[118:119], s[12:13], -v[224:225]
	v_fma_f64 v[158:159], v[118:119], s[12:13], v[224:225]
	s_delay_alu instid0(VALU_DEP_2) | instskip(SKIP_1) | instid1(VALU_DEP_3)
	v_add_f64_e32 v[172:173], v[226:227], v[172:173]
	v_mul_f64_e32 v[226:227], s[26:27], v[126:127]
	v_add_f64_e32 v[74:75], v[158:159], v[74:75]
	s_delay_alu instid0(VALU_DEP_2) | instskip(SKIP_1) | instid1(VALU_DEP_2)
	v_fma_f64 v[228:229], v[120:121], s[12:13], v[226:227]
	v_fma_f64 v[158:159], v[120:121], s[12:13], -v[226:227]
	v_add_f64_e32 v[170:171], v[228:229], v[170:171]
	v_mul_f64_e32 v[228:229], s[48:49], v[138:139]
	s_delay_alu instid0(VALU_DEP_3) | instskip(NEXT) | instid1(VALU_DEP_2)
	v_add_f64_e32 v[156:157], v[158:159], v[156:157]
	v_fma_f64 v[230:231], v[128:129], s[6:7], -v[228:229]
	v_fma_f64 v[158:159], v[128:129], s[6:7], v[228:229]
	s_delay_alu instid0(VALU_DEP_2) | instskip(SKIP_1) | instid1(VALU_DEP_3)
	v_add_f64_e32 v[172:173], v[230:231], v[172:173]
	v_mul_f64_e32 v[230:231], s[48:49], v[144:145]
	v_add_f64_e32 v[74:75], v[158:159], v[74:75]
	s_delay_alu instid0(VALU_DEP_2) | instskip(SKIP_1) | instid1(VALU_DEP_2)
	v_fma_f64 v[232:233], v[130:131], s[6:7], v[230:231]
	v_fma_f64 v[158:159], v[130:131], s[6:7], -v[230:231]
	v_add_f64_e32 v[170:171], v[232:233], v[170:171]
	v_mul_f64_e32 v[232:233], s[36:37], v[162:163]
	s_delay_alu instid0(VALU_DEP_3) | instskip(NEXT) | instid1(VALU_DEP_2)
	;; [unrolled: 13-line block ×4, first 2 shown]
	v_add_f64_e32 v[156:157], v[158:159], v[156:157]
	v_fma_f64 v[242:243], v[186:187], s[16:17], -v[240:241]
	v_fma_f64 v[158:159], v[186:187], s[16:17], v[240:241]
	s_delay_alu instid0(VALU_DEP_2) | instskip(SKIP_1) | instid1(VALU_DEP_3)
	v_add_f64_e32 v[172:173], v[242:243], v[172:173]
	v_mul_f64_e32 v[242:243], s[42:43], v[200:201]
	v_add_f64_e32 v[74:75], v[158:159], v[74:75]
	s_delay_alu instid0(VALU_DEP_2) | instskip(SKIP_1) | instid1(VALU_DEP_2)
	v_fma_f64 v[158:159], v[192:193], s[16:17], -v[242:243]
	v_fma_f64 v[244:245], v[192:193], s[16:17], v[242:243]
	v_add_f64_e32 v[158:159], v[158:159], v[156:157]
	v_fma_f64 v[156:157], v[202:203], s[10:11], v[246:247]
	s_delay_alu instid0(VALU_DEP_3)
	v_add_f64_e32 v[244:245], v[244:245], v[170:171]
	v_fma_f64 v[170:171], v[202:203], s[10:11], -v[246:247]
	v_mul_f64_e32 v[246:247], s[44:45], v[210:211]
	v_add_f64_e32 v[158:159], v[222:223], v[158:159]
	v_add_f64_e32 v[156:157], v[156:157], v[74:75]
	v_mul_f64_e32 v[74:75], s[40:41], v[114:115]
	v_add_f64_e32 v[170:171], v[170:171], v[172:173]
	v_fma_f64 v[172:173], v[204:205], s[10:11], v[248:249]
	v_mul_f64_e32 v[248:249], s[44:45], v[212:213]
	s_delay_alu instid0(VALU_DEP_4) | instskip(SKIP_1) | instid1(VALU_DEP_4)
	v_fma_f64 v[222:223], v[106:107], s[34:35], -v[74:75]
	v_fma_f64 v[74:75], v[106:107], s[34:35], v[74:75]
	v_add_f64_e32 v[172:173], v[172:173], v[244:245]
	s_delay_alu instid0(VALU_DEP_3) | instskip(SKIP_1) | instid1(VALU_DEP_4)
	v_add_f64_e32 v[152:153], v[222:223], v[152:153]
	v_mul_f64_e32 v[222:223], s[40:41], v[116:117]
	v_add_f64_e32 v[74:75], v[74:75], v[140:141]
	s_delay_alu instid0(VALU_DEP_2) | instskip(SKIP_1) | instid1(VALU_DEP_2)
	v_fma_f64 v[224:225], v[108:109], s[34:35], v[222:223]
	v_fma_f64 v[140:141], v[108:109], s[34:35], -v[222:223]
	v_add_f64_e32 v[150:151], v[224:225], v[150:151]
	v_mul_f64_e32 v[224:225], s[20:21], v[122:123]
	s_delay_alu instid0(VALU_DEP_3) | instskip(NEXT) | instid1(VALU_DEP_2)
	v_add_f64_e32 v[136:137], v[140:141], v[136:137]
	v_fma_f64 v[226:227], v[118:119], s[2:3], -v[224:225]
	v_fma_f64 v[140:141], v[118:119], s[2:3], v[224:225]
	v_fma_f64 v[224:225], v[204:205], s[12:13], -v[248:249]
	s_delay_alu instid0(VALU_DEP_3) | instskip(SKIP_1) | instid1(VALU_DEP_4)
	v_add_f64_e32 v[152:153], v[226:227], v[152:153]
	v_mul_f64_e32 v[226:227], s[20:21], v[126:127]
	v_add_f64_e32 v[74:75], v[140:141], v[74:75]
	s_delay_alu instid0(VALU_DEP_2) | instskip(SKIP_1) | instid1(VALU_DEP_2)
	v_fma_f64 v[228:229], v[120:121], s[2:3], v[226:227]
	v_fma_f64 v[140:141], v[120:121], s[2:3], -v[226:227]
	v_add_f64_e32 v[150:151], v[228:229], v[150:151]
	v_mul_f64_e32 v[228:229], s[42:43], v[138:139]
	s_delay_alu instid0(VALU_DEP_3) | instskip(NEXT) | instid1(VALU_DEP_2)
	v_add_f64_e32 v[136:137], v[140:141], v[136:137]
	v_fma_f64 v[230:231], v[128:129], s[16:17], -v[228:229]
	v_fma_f64 v[140:141], v[128:129], s[16:17], v[228:229]
	s_delay_alu instid0(VALU_DEP_2) | instskip(SKIP_1) | instid1(VALU_DEP_3)
	v_add_f64_e32 v[152:153], v[230:231], v[152:153]
	v_mul_f64_e32 v[230:231], s[42:43], v[144:145]
	v_add_f64_e32 v[74:75], v[140:141], v[74:75]
	s_delay_alu instid0(VALU_DEP_2) | instskip(SKIP_1) | instid1(VALU_DEP_2)
	v_fma_f64 v[232:233], v[130:131], s[16:17], v[230:231]
	v_fma_f64 v[140:141], v[130:131], s[16:17], -v[230:231]
	v_add_f64_e32 v[150:151], v[232:233], v[150:151]
	v_mul_f64_e32 v[232:233], s[22:23], v[162:163]
	s_delay_alu instid0(VALU_DEP_3) | instskip(NEXT) | instid1(VALU_DEP_2)
	v_add_f64_e32 v[136:137], v[140:141], v[136:137]
	v_fma_f64 v[234:235], v[146:147], s[6:7], -v[232:233]
	v_fma_f64 v[140:141], v[146:147], s[6:7], v[232:233]
	s_delay_alu instid0(VALU_DEP_2) | instskip(SKIP_1) | instid1(VALU_DEP_3)
	;; [unrolled: 13-line block ×4, first 2 shown]
	v_add_f64_e32 v[152:153], v[242:243], v[152:153]
	v_mul_f64_e32 v[242:243], s[24:25], v[200:201]
	v_add_f64_e32 v[74:75], v[140:141], v[74:75]
	s_delay_alu instid0(VALU_DEP_2) | instskip(SKIP_1) | instid1(VALU_DEP_2)
	v_fma_f64 v[140:141], v[192:193], s[10:11], -v[242:243]
	v_fma_f64 v[244:245], v[192:193], s[10:11], v[242:243]
	v_add_f64_e32 v[136:137], v[140:141], v[136:137]
	v_fma_f64 v[140:141], v[202:203], s[12:13], v[246:247]
	s_delay_alu instid0(VALU_DEP_3) | instskip(SKIP_1) | instid1(VALU_DEP_4)
	v_add_f64_e32 v[244:245], v[244:245], v[150:151]
	v_fma_f64 v[150:151], v[202:203], s[12:13], -v[246:247]
	v_add_f64_e32 v[224:225], v[224:225], v[136:137]
	s_delay_alu instid0(VALU_DEP_4) | instskip(SKIP_1) | instid1(VALU_DEP_4)
	v_add_f64_e32 v[222:223], v[140:141], v[74:75]
	v_fma_f64 v[74:75], v[106:107], s[12:13], v[132:133]
	v_add_f64_e32 v[150:151], v[150:151], v[152:153]
	v_fma_f64 v[152:153], v[204:205], s[12:13], v[248:249]
	s_delay_alu instid0(VALU_DEP_3) | instskip(SKIP_2) | instid1(VALU_DEP_4)
	v_add_f64_e32 v[14:15], v[74:75], v[14:15]
	v_fma_f64 v[74:75], v[108:109], s[12:13], -v[124:125]
	v_fma_f64 v[124:125], v[204:205], s[34:35], -v[216:217]
	v_add_f64_e32 v[152:153], v[152:153], v[244:245]
	s_delay_alu instid0(VALU_DEP_3) | instskip(SKIP_1) | instid1(VALU_DEP_1)
	v_add_f64_e32 v[12:13], v[74:75], v[12:13]
	v_fma_f64 v[74:75], v[118:119], s[6:7], v[142:143]
	v_add_f64_e32 v[14:15], v[74:75], v[14:15]
	v_fma_f64 v[74:75], v[120:121], s[6:7], -v[134:135]
	s_delay_alu instid0(VALU_DEP_1) | instskip(SKIP_2) | instid1(VALU_DEP_2)
	v_add_f64_e32 v[12:13], v[74:75], v[12:13]
	v_fma_f64 v[74:75], v[128:129], s[0:1], v[160:161]
	v_mul_f64_e32 v[160:161], s[18:19], v[212:213]
	v_add_f64_e32 v[14:15], v[74:75], v[14:15]
	v_fma_f64 v[74:75], v[130:131], s[0:1], -v[154:155]
	v_mul_f64_e32 v[154:155], s[18:19], v[210:211]
	s_delay_alu instid0(VALU_DEP_2) | instskip(SKIP_1) | instid1(VALU_DEP_1)
	v_add_f64_e32 v[12:13], v[74:75], v[12:13]
	v_fma_f64 v[74:75], v[146:147], s[2:3], v[180:181]
	v_add_f64_e32 v[14:15], v[74:75], v[14:15]
	v_fma_f64 v[74:75], v[148:149], s[2:3], -v[174:175]
	s_delay_alu instid0(VALU_DEP_1) | instskip(SKIP_1) | instid1(VALU_DEP_1)
	v_add_f64_e32 v[12:13], v[74:75], v[12:13]
	v_fma_f64 v[74:75], v[166:167], s[10:11], v[196:197]
	v_add_f64_e32 v[14:15], v[74:75], v[14:15]
	v_fma_f64 v[74:75], v[168:169], s[10:11], -v[194:195]
	s_delay_alu instid0(VALU_DEP_1) | instskip(SKIP_1) | instid1(VALU_DEP_1)
	;; [unrolled: 5-line block ×3, first 2 shown]
	v_add_f64_e32 v[74:75], v[74:75], v[12:13]
	v_fma_f64 v[12:13], v[202:203], s[34:35], v[214:215]
	v_add_f64_e32 v[12:13], v[12:13], v[14:15]
	s_delay_alu instid0(VALU_DEP_3) | instskip(SKIP_1) | instid1(VALU_DEP_1)
	v_add_f64_e32 v[14:15], v[124:125], v[74:75]
	v_mul_f64_e32 v[74:75], s[30:31], v[114:115]
	v_fma_f64 v[114:115], v[106:107], s[16:17], -v[74:75]
	v_fma_f64 v[16:17], v[106:107], s[16:17], v[74:75]
	s_delay_alu instid0(VALU_DEP_2) | instskip(SKIP_1) | instid1(VALU_DEP_3)
	v_add_f64_e32 v[112:113], v[114:115], v[112:113]
	v_mul_f64_e32 v[114:115], s[30:31], v[116:117]
	v_add_f64_e32 v[16:17], v[16:17], v[98:99]
	s_delay_alu instid0(VALU_DEP_2) | instskip(SKIP_1) | instid1(VALU_DEP_2)
	v_fma_f64 v[116:117], v[108:109], s[16:17], v[114:115]
	v_fma_f64 v[18:19], v[108:109], s[16:17], -v[114:115]
	v_add_f64_e32 v[110:111], v[116:117], v[110:111]
	v_mul_f64_e32 v[116:117], s[28:29], v[122:123]
	s_delay_alu instid0(VALU_DEP_3) | instskip(NEXT) | instid1(VALU_DEP_2)
	v_add_f64_e32 v[18:19], v[18:19], v[100:101]
	v_fma_f64 v[122:123], v[118:119], s[14:15], -v[116:117]
	v_fma_f64 v[40:41], v[118:119], s[14:15], v[116:117]
	s_delay_alu instid0(VALU_DEP_2) | instskip(SKIP_1) | instid1(VALU_DEP_3)
	v_add_f64_e32 v[112:113], v[122:123], v[112:113]
	v_mul_f64_e32 v[122:123], s[28:29], v[126:127]
	v_add_f64_e32 v[16:17], v[40:41], v[16:17]
	s_delay_alu instid0(VALU_DEP_2) | instskip(SKIP_1) | instid1(VALU_DEP_2)
	v_fma_f64 v[124:125], v[120:121], s[14:15], v[122:123]
	v_fma_f64 v[42:43], v[120:121], s[14:15], -v[122:123]
	v_add_f64_e32 v[110:111], v[124:125], v[110:111]
	v_mul_f64_e32 v[124:125], s[26:27], v[138:139]
	s_delay_alu instid0(VALU_DEP_3) | instskip(NEXT) | instid1(VALU_DEP_2)
	v_add_f64_e32 v[18:19], v[42:43], v[18:19]
	;; [unrolled: 13-line block ×5, first 2 shown]
	v_fma_f64 v[142:143], v[186:187], s[2:3], -v[140:141]
	v_fma_f64 v[40:41], v[186:187], s[2:3], v[140:141]
	s_delay_alu instid0(VALU_DEP_2) | instskip(SKIP_1) | instid1(VALU_DEP_3)
	v_add_f64_e32 v[112:113], v[142:143], v[112:113]
	v_mul_f64_e32 v[142:143], s[20:21], v[200:201]
	v_add_f64_e32 v[16:17], v[40:41], v[16:17]
	v_fma_f64 v[40:41], v[202:203], s[0:1], v[154:155]
	s_delay_alu instid0(VALU_DEP_3) | instskip(SKIP_1) | instid1(VALU_DEP_3)
	v_fma_f64 v[144:145], v[192:193], s[2:3], v[142:143]
	v_fma_f64 v[42:43], v[192:193], s[2:3], -v[142:143]
	v_add_f64_e32 v[16:17], v[40:41], v[16:17]
	v_and_b32_e32 v40, 0xffff, v73
	v_lshlrev_b32_e32 v41, 4, v221
	s_delay_alu instid0(VALU_DEP_2) | instskip(NEXT) | instid1(VALU_DEP_1)
	v_mul_u32_u24_e32 v40, 0x1210, v40
	v_add3_u32 v40, 0, v40, v41
	v_add_f64_e32 v[144:145], v[144:145], v[110:111]
	v_fma_f64 v[110:111], v[202:203], s[0:1], -v[154:155]
	v_add_f64_e32 v[18:19], v[42:43], v[18:19]
	v_fma_f64 v[42:43], v[204:205], s[0:1], -v[160:161]
	s_delay_alu instid0(VALU_DEP_3) | instskip(SKIP_1) | instid1(VALU_DEP_3)
	v_add_f64_e32 v[110:111], v[110:111], v[112:113]
	v_fma_f64 v[112:113], v[204:205], s[0:1], v[160:161]
	v_add_f64_e32 v[18:19], v[42:43], v[18:19]
	v_cmp_gt_u32_e64 s0, 0x55, v72
	s_delay_alu instid0(VALU_DEP_3)
	v_add_f64_e32 v[112:113], v[112:113], v[144:145]
	ds_store_b128 v40, v[20:23] offset:544
	ds_store_b128 v40, v[24:27] offset:816
	;; [unrolled: 1-line block ×15, first 2 shown]
	ds_store_b128 v40, v[36:39]
	ds_store_b128 v40, v[16:19] offset:4352
	global_wb scope:SCOPE_SE
	s_wait_dscnt 0x0
	s_barrier_signal -1
	s_barrier_wait -1
	global_inv scope:SCOPE_SE
	ds_load_b128 v[28:31], v218
	ds_load_b128 v[24:27], v220
	ds_load_b128 v[52:55], v218 offset:4624
	ds_load_b128 v[48:51], v218 offset:6256
	ds_load_b128 v[40:43], v218 offset:9248
	ds_load_b128 v[32:35], v218 offset:10880
	ds_load_b128 v[64:67], v218 offset:13872
	ds_load_b128 v[56:59], v218 offset:15504
	ds_load_b128 v[44:47], v218 offset:18496
	ds_load_b128 v[36:39], v218 offset:20128
	ds_load_b128 v[68:71], v218 offset:23120
	ds_load_b128 v[60:63], v218 offset:24752
                                        ; implicit-def: $vgpr22_vgpr23
	s_and_saveexec_b32 s1, s0
	s_cbranch_execz .LBB0_15
; %bb.14:
	ds_load_b128 v[8:11], v219
	ds_load_b128 v[4:7], v218 offset:7888
	ds_load_b128 v[0:3], v218 offset:12512
	;; [unrolled: 1-line block ×5, first 2 shown]
.LBB0_15:
	s_wait_alu 0xfffe
	s_or_b32 exec_lo, exec_lo, s1
	v_mul_u32_u24_e32 v73, 5, v72
	v_mul_i32_i24_e32 v78, 5, v77
	v_mov_b32_e32 v79, 0
	s_mov_b32 s2, 0xe8584caa
	s_mov_b32 s3, 0x3febb67a
	v_lshlrev_b32_e32 v75, 4, v73
	s_mov_b32 s7, 0xbfebb67a
	v_lshlrev_b64_e32 v[73:74], 4, v[78:79]
	s_wait_alu 0xfffe
	s_mov_b32 s6, s2
	s_clause 0x1
	global_load_b128 v[80:83], v75, s[4:5] offset:4384
	global_load_b128 v[84:87], v75, s[4:5] offset:4416
	v_add_co_u32 v73, s1, s4, v73
	s_wait_alu 0xf1ff
	v_add_co_ci_u32_e64 v74, s1, s5, v74, s1
	s_clause 0x7
	global_load_b128 v[88:91], v[73:74], off offset:4384
	global_load_b128 v[92:95], v[73:74], off offset:4416
	global_load_b128 v[96:99], v75, s[4:5] offset:4352
	global_load_b128 v[100:103], v[73:74], off offset:4352
	global_load_b128 v[104:107], v75, s[4:5] offset:4368
	global_load_b128 v[108:111], v75, s[4:5] offset:4400
	global_load_b128 v[112:115], v[73:74], off offset:4368
	global_load_b128 v[116:119], v[73:74], off offset:4400
	global_wb scope:SCOPE_SE
	s_wait_loadcnt_dscnt 0x0
	s_barrier_signal -1
	s_barrier_wait -1
	global_inv scope:SCOPE_SE
	v_mul_f64_e32 v[73:74], v[66:67], v[82:83]
	v_mul_f64_e32 v[75:76], v[64:65], v[82:83]
	;; [unrolled: 1-line block ×10, first 2 shown]
	v_fma_f64 v[64:65], v[64:65], v[80:81], -v[73:74]
	v_fma_f64 v[66:67], v[66:67], v[80:81], v[75:76]
	v_fma_f64 v[70:71], v[70:71], v[84:85], v[82:83]
	v_fma_f64 v[68:69], v[68:69], v[84:85], -v[86:87]
	v_mul_f64_e32 v[73:74], v[50:51], v[102:103]
	v_mul_f64_e32 v[75:76], v[48:49], v[102:103]
	v_fma_f64 v[56:57], v[56:57], v[88:89], -v[120:121]
	v_fma_f64 v[58:59], v[58:59], v[88:89], v[90:91]
	v_fma_f64 v[62:63], v[62:63], v[92:93], v[122:123]
	v_fma_f64 v[60:61], v[60:61], v[92:93], -v[94:95]
	v_mul_f64_e32 v[80:81], v[42:43], v[106:107]
	v_mul_f64_e32 v[82:83], v[40:41], v[106:107]
	;; [unrolled: 1-line block ×4, first 2 shown]
	v_fma_f64 v[52:53], v[52:53], v[96:97], -v[124:125]
	v_fma_f64 v[54:55], v[54:55], v[96:97], v[98:99]
	v_mul_f64_e32 v[92:93], v[34:35], v[114:115]
	v_mul_f64_e32 v[94:95], v[32:33], v[114:115]
	;; [unrolled: 1-line block ×4, first 2 shown]
	v_add_f64_e32 v[88:89], v[66:67], v[70:71]
	v_add_f64_e32 v[90:91], v[64:65], v[68:69]
	v_fma_f64 v[48:49], v[48:49], v[100:101], -v[73:74]
	v_fma_f64 v[50:51], v[50:51], v[100:101], v[75:76]
	v_add_f64_e32 v[73:74], v[58:59], v[62:63]
	v_add_f64_e32 v[75:76], v[56:57], v[60:61]
	v_fma_f64 v[40:41], v[40:41], v[104:105], -v[80:81]
	v_fma_f64 v[42:43], v[42:43], v[104:105], v[82:83]
	v_fma_f64 v[44:45], v[44:45], v[108:109], -v[84:85]
	v_fma_f64 v[46:47], v[46:47], v[108:109], v[86:87]
	v_add_f64_e64 v[80:81], v[66:67], -v[70:71]
	v_add_f64_e64 v[82:83], v[64:65], -v[68:69]
	v_fma_f64 v[32:33], v[32:33], v[112:113], -v[92:93]
	v_fma_f64 v[34:35], v[34:35], v[112:113], v[94:95]
	v_fma_f64 v[36:37], v[36:37], v[116:117], -v[96:97]
	v_fma_f64 v[38:39], v[38:39], v[116:117], v[98:99]
	v_fma_f64 v[84:85], v[88:89], -0.5, v[54:55]
	v_fma_f64 v[86:87], v[90:91], -0.5, v[52:53]
	v_add_f64_e64 v[88:89], v[58:59], -v[62:63]
	v_add_f64_e64 v[90:91], v[56:57], -v[60:61]
	v_add_f64_e32 v[52:53], v[52:53], v[64:65]
	v_add_f64_e32 v[54:55], v[54:55], v[66:67]
	v_fma_f64 v[73:74], v[73:74], -0.5, v[50:51]
	v_fma_f64 v[75:76], v[75:76], -0.5, v[48:49]
	v_add_f64_e32 v[48:49], v[48:49], v[56:57]
	v_add_f64_e32 v[50:51], v[50:51], v[58:59]
	;; [unrolled: 1-line block ×6, first 2 shown]
	s_wait_alu 0xfffe
	v_fma_f64 v[96:97], v[82:83], s[6:7], v[84:85]
	v_fma_f64 v[98:99], v[80:81], s[6:7], v[86:87]
	;; [unrolled: 1-line block ×4, first 2 shown]
	v_add_f64_e32 v[84:85], v[32:33], v[36:37]
	v_add_f64_e32 v[86:87], v[34:35], v[38:39]
	v_fma_f64 v[100:101], v[90:91], s[6:7], v[73:74]
	v_fma_f64 v[102:103], v[88:89], s[6:7], v[75:76]
	;; [unrolled: 1-line block ×4, first 2 shown]
	v_add_f64_e32 v[88:89], v[28:29], v[40:41]
	v_add_f64_e64 v[90:91], v[42:43], -v[46:47]
	v_add_f64_e32 v[42:43], v[30:31], v[42:43]
	v_fma_f64 v[28:29], v[92:93], -0.5, v[28:29]
	v_add_f64_e64 v[40:41], v[40:41], -v[44:45]
	v_fma_f64 v[30:31], v[94:95], -0.5, v[30:31]
	v_add_f64_e64 v[34:35], v[34:35], -v[38:39]
	v_add_f64_e64 v[32:33], v[32:33], -v[36:37]
	v_add_f64_e32 v[38:39], v[66:67], v[38:39]
	v_add_f64_e32 v[50:51], v[50:51], v[62:63]
	;; [unrolled: 1-line block ×4, first 2 shown]
	v_mul_f64_e32 v[56:57], s[2:3], v[96:97]
	v_mul_f64_e32 v[58:59], -0.5, v[98:99]
	v_mul_f64_e32 v[92:93], s[6:7], v[80:81]
	v_mul_f64_e32 v[94:95], -0.5, v[82:83]
	v_fma_f64 v[24:25], v[84:85], -0.5, v[24:25]
	v_fma_f64 v[26:27], v[86:87], -0.5, v[26:27]
	v_mul_f64_e32 v[84:85], s[2:3], v[100:101]
	v_mul_f64_e32 v[86:87], -0.5, v[102:103]
	v_mul_f64_e32 v[104:105], s[6:7], v[75:76]
	v_mul_f64_e32 v[106:107], -0.5, v[73:74]
	v_add_f64_e32 v[44:45], v[88:89], v[44:45]
	v_add_f64_e32 v[42:43], v[42:43], v[46:47]
	;; [unrolled: 1-line block ×4, first 2 shown]
	v_fma_f64 v[54:55], v[90:91], s[2:3], v[28:29]
	v_fma_f64 v[62:63], v[40:41], s[6:7], v[30:31]
	;; [unrolled: 1-line block ×4, first 2 shown]
	v_fma_f64 v[56:57], v[80:81], 0.5, v[56:57]
	v_fma_f64 v[58:59], v[82:83], s[2:3], v[58:59]
	v_fma_f64 v[66:67], v[96:97], 0.5, v[92:93]
	v_fma_f64 v[68:69], v[98:99], s[6:7], v[94:95]
	v_fma_f64 v[70:71], v[34:35], s[2:3], v[24:25]
	;; [unrolled: 1-line block ×3, first 2 shown]
	v_fma_f64 v[75:76], v[75:76], 0.5, v[84:85]
	v_fma_f64 v[80:81], v[34:35], s[6:7], v[24:25]
	v_fma_f64 v[84:85], v[100:101], 0.5, v[104:105]
	v_fma_f64 v[88:89], v[32:33], s[2:3], v[26:27]
	v_fma_f64 v[73:74], v[73:74], s[2:3], v[86:87]
	;; [unrolled: 1-line block ×3, first 2 shown]
	v_add_f64_e32 v[32:33], v[36:37], v[48:49]
	v_add_f64_e32 v[24:25], v[44:45], v[46:47]
	;; [unrolled: 1-line block ×3, first 2 shown]
	v_add_f64_e64 v[30:31], v[42:43], -v[52:53]
	v_add_f64_e64 v[28:29], v[44:45], -v[46:47]
	v_add_f64_e32 v[34:35], v[38:39], v[50:51]
	v_add_f64_e64 v[36:37], v[36:37], -v[48:49]
	v_add_f64_e64 v[38:39], v[38:39], -v[50:51]
	v_add_f64_e32 v[40:41], v[54:55], v[56:57]
	v_add_f64_e32 v[44:45], v[60:61], v[58:59]
	;; [unrolled: 1-line block ×4, first 2 shown]
	v_add_f64_e64 v[48:49], v[54:55], -v[56:57]
	v_add_f64_e64 v[50:51], v[62:63], -v[66:67]
	;; [unrolled: 1-line block ×4, first 2 shown]
	v_add_f64_e32 v[56:57], v[70:71], v[75:76]
	v_add_f64_e32 v[58:59], v[82:83], v[84:85]
	;; [unrolled: 1-line block ×4, first 2 shown]
	v_add_f64_e64 v[64:65], v[70:71], -v[75:76]
	v_add_f64_e64 v[66:67], v[82:83], -v[84:85]
	;; [unrolled: 1-line block ×4, first 2 shown]
	ds_store_b128 v218, v[24:27]
	ds_store_b128 v218, v[40:43] offset:4624
	ds_store_b128 v218, v[44:47] offset:9248
	;; [unrolled: 1-line block ×5, first 2 shown]
	ds_store_b128 v220, v[32:35]
	ds_store_b128 v220, v[56:59] offset:4624
	ds_store_b128 v220, v[60:63] offset:9248
	;; [unrolled: 1-line block ×5, first 2 shown]
	s_and_saveexec_b32 s1, s0
	s_cbranch_execz .LBB0_17
; %bb.16:
	v_add_nc_u32_e32 v24, 0xffffffab, v72
	s_delay_alu instid0(VALU_DEP_1) | instskip(NEXT) | instid1(VALU_DEP_1)
	v_cndmask_b32_e64 v24, v24, v250, s0
	v_mul_i32_i24_e32 v78, 5, v24
	s_delay_alu instid0(VALU_DEP_1) | instskip(NEXT) | instid1(VALU_DEP_1)
	v_lshlrev_b64_e32 v[24:25], 4, v[78:79]
	v_add_co_u32 v40, s0, s4, v24
	s_wait_alu 0xf1ff
	s_delay_alu instid0(VALU_DEP_2)
	v_add_co_ci_u32_e64 v41, s0, s5, v25, s0
	s_clause 0x4
	global_load_b128 v[24:27], v[40:41], off offset:4384
	global_load_b128 v[28:31], v[40:41], off offset:4416
	;; [unrolled: 1-line block ×5, first 2 shown]
	s_wait_loadcnt 0x4
	v_mul_f64_e32 v[44:45], v[12:13], v[26:27]
	s_wait_loadcnt 0x3
	v_mul_f64_e32 v[46:47], v[20:21], v[30:31]
	v_mul_f64_e32 v[26:27], v[14:15], v[26:27]
	;; [unrolled: 1-line block ×3, first 2 shown]
	s_wait_loadcnt 0x2
	v_mul_f64_e32 v[48:49], v[6:7], v[34:35]
	v_mul_f64_e32 v[34:35], v[4:5], v[34:35]
	v_fma_f64 v[14:15], v[14:15], v[24:25], v[44:45]
	v_fma_f64 v[22:23], v[22:23], v[28:29], v[46:47]
	v_fma_f64 v[12:13], v[12:13], v[24:25], -v[26:27]
	v_fma_f64 v[20:21], v[20:21], v[28:29], -v[30:31]
	s_wait_loadcnt 0x1
	v_mul_f64_e32 v[24:25], v[2:3], v[38:39]
	v_mul_f64_e32 v[26:27], v[0:1], v[38:39]
	s_wait_loadcnt 0x0
	v_mul_f64_e32 v[28:29], v[16:17], v[42:43]
	v_mul_f64_e32 v[30:31], v[18:19], v[42:43]
	v_fma_f64 v[6:7], v[6:7], v[32:33], v[34:35]
	v_fma_f64 v[4:5], v[4:5], v[32:33], -v[48:49]
	v_add_f64_e32 v[34:35], v[14:15], v[22:23]
	v_add_f64_e32 v[32:33], v[12:13], v[20:21]
	v_fma_f64 v[0:1], v[0:1], v[36:37], -v[24:25]
	v_fma_f64 v[2:3], v[2:3], v[36:37], v[26:27]
	v_fma_f64 v[18:19], v[18:19], v[40:41], v[28:29]
	v_fma_f64 v[16:17], v[16:17], v[40:41], -v[30:31]
	v_add_f64_e64 v[24:25], v[12:13], -v[20:21]
	v_add_f64_e64 v[28:29], v[14:15], -v[22:23]
	v_fma_f64 v[26:27], v[34:35], -0.5, v[6:7]
	v_add_f64_e32 v[6:7], v[6:7], v[14:15]
	v_fma_f64 v[30:31], v[32:33], -0.5, v[4:5]
	v_add_f64_e32 v[4:5], v[4:5], v[12:13]
	v_add_f64_e32 v[32:33], v[2:3], v[18:19]
	;; [unrolled: 1-line block ×3, first 2 shown]
	v_fma_f64 v[36:37], v[24:25], s[2:3], v[26:27]
	v_fma_f64 v[24:25], v[24:25], s[6:7], v[26:27]
	;; [unrolled: 1-line block ×4, first 2 shown]
	v_add_f64_e64 v[28:29], v[0:1], -v[16:17]
	v_add_f64_e32 v[30:31], v[10:11], v[2:3]
	v_add_f64_e32 v[0:1], v[8:9], v[0:1]
	v_fma_f64 v[10:11], v[32:33], -0.5, v[10:11]
	v_add_f64_e64 v[2:3], v[2:3], -v[18:19]
	v_fma_f64 v[8:9], v[34:35], -0.5, v[8:9]
	v_add_f64_e32 v[6:7], v[6:7], v[22:23]
	v_add_f64_e32 v[4:5], v[4:5], v[20:21]
	v_mul_f64_e32 v[12:13], -0.5, v[36:37]
	v_mul_f64_e32 v[32:33], s[2:3], v[24:25]
	v_mul_f64_e32 v[14:15], s[6:7], v[38:39]
	v_mul_f64_e32 v[34:35], -0.5, v[26:27]
	v_add_f64_e32 v[18:19], v[30:31], v[18:19]
	v_add_f64_e32 v[16:17], v[0:1], v[16:17]
	v_fma_f64 v[20:21], v[28:29], s[2:3], v[10:11]
	v_fma_f64 v[22:23], v[28:29], s[6:7], v[10:11]
	;; [unrolled: 1-line block ×5, first 2 shown]
	v_fma_f64 v[26:27], v[38:39], 0.5, v[32:33]
	v_fma_f64 v[24:25], v[24:25], 0.5, v[14:15]
	v_fma_f64 v[30:31], v[36:37], s[2:3], v[34:35]
	v_add_f64_e64 v[2:3], v[18:19], -v[6:7]
	v_add_f64_e64 v[0:1], v[16:17], -v[4:5]
	v_add_f64_e32 v[6:7], v[18:19], v[6:7]
	v_add_f64_e32 v[4:5], v[16:17], v[4:5]
	v_add_f64_e64 v[10:11], v[20:21], -v[12:13]
	v_add_f64_e32 v[16:17], v[8:9], v[26:27]
	v_add_f64_e32 v[18:19], v[22:23], v[24:25]
	;; [unrolled: 1-line block ×4, first 2 shown]
	v_add_f64_e64 v[22:23], v[22:23], -v[24:25]
	v_add_f64_e64 v[20:21], v[8:9], -v[26:27]
	v_add_f64_e64 v[8:9], v[28:29], -v[30:31]
	ds_store_b128 v218, v[4:7] offset:3264
	ds_store_b128 v218, v[16:19] offset:7888
	;; [unrolled: 1-line block ×6, first 2 shown]
.LBB0_17:
	s_wait_alu 0xfffe
	s_or_b32 exec_lo, exec_lo, s1
	global_wb scope:SCOPE_SE
	s_wait_dscnt 0x0
	s_barrier_signal -1
	s_barrier_wait -1
	global_inv scope:SCOPE_SE
	ds_load_b128 v[4:7], v218
	v_lshlrev_b32_e32 v0, 4, v72
	s_mov_b32 s1, exec_lo
                                        ; implicit-def: $vgpr2_vgpr3
                                        ; implicit-def: $vgpr10_vgpr11
                                        ; implicit-def: $vgpr8_vgpr9
	s_delay_alu instid0(VALU_DEP_1)
	v_sub_nc_u32_e32 v12, 0, v0
	v_cmpx_ne_u32_e32 0, v72
	s_wait_alu 0xfffe
	s_xor_b32 s1, exec_lo, s1
	s_cbranch_execz .LBB0_19
; %bb.18:
	v_mov_b32_e32 v73, 0
	s_delay_alu instid0(VALU_DEP_1) | instskip(NEXT) | instid1(VALU_DEP_1)
	v_lshlrev_b64_e32 v[0:1], 4, v[72:73]
	v_add_co_u32 v0, s0, s4, v0
	s_wait_alu 0xf1ff
	s_delay_alu instid0(VALU_DEP_2)
	v_add_co_ci_u32_e64 v1, s0, s5, v1, s0
	global_load_b128 v[8:11], v[0:1], off offset:27472
	ds_load_b128 v[0:3], v12 offset:27744
	s_wait_dscnt 0x0
	v_add_f64_e64 v[13:14], v[4:5], -v[0:1]
	v_add_f64_e32 v[15:16], v[6:7], v[2:3]
	v_add_f64_e64 v[2:3], v[6:7], -v[2:3]
	v_add_f64_e32 v[0:1], v[4:5], v[0:1]
	s_delay_alu instid0(VALU_DEP_4) | instskip(NEXT) | instid1(VALU_DEP_4)
	v_mul_f64_e32 v[6:7], 0.5, v[13:14]
	v_mul_f64_e32 v[4:5], 0.5, v[15:16]
	s_delay_alu instid0(VALU_DEP_4) | instskip(SKIP_1) | instid1(VALU_DEP_3)
	v_mul_f64_e32 v[2:3], 0.5, v[2:3]
	s_wait_loadcnt 0x0
	v_mul_f64_e32 v[13:14], v[6:7], v[10:11]
	s_delay_alu instid0(VALU_DEP_2) | instskip(SKIP_1) | instid1(VALU_DEP_3)
	v_fma_f64 v[15:16], v[4:5], v[10:11], v[2:3]
	v_fma_f64 v[2:3], v[4:5], v[10:11], -v[2:3]
	v_fma_f64 v[17:18], v[0:1], 0.5, v[13:14]
	v_fma_f64 v[0:1], v[0:1], 0.5, -v[13:14]
	s_delay_alu instid0(VALU_DEP_4) | instskip(NEXT) | instid1(VALU_DEP_4)
	v_fma_f64 v[10:11], -v[8:9], v[6:7], v[15:16]
	v_fma_f64 v[2:3], -v[8:9], v[6:7], v[2:3]
	s_delay_alu instid0(VALU_DEP_4) | instskip(NEXT) | instid1(VALU_DEP_4)
	v_fma_f64 v[13:14], v[4:5], v[8:9], v[17:18]
	v_fma_f64 v[0:1], -v[4:5], v[8:9], v[0:1]
	v_dual_mov_b32 v8, v72 :: v_dual_mov_b32 v9, v73
                                        ; implicit-def: $vgpr4_vgpr5
	ds_store_b64 v218, v[13:14]
.LBB0_19:
	s_wait_alu 0xfffe
	s_and_not1_saveexec_b32 s0, s1
	s_cbranch_execz .LBB0_21
; %bb.20:
	s_wait_dscnt 0x0
	v_add_f64_e32 v[13:14], v[4:5], v[6:7]
	v_add_f64_e64 v[0:1], v[4:5], -v[6:7]
	v_mov_b32_e32 v6, 0
	v_mov_b32_e32 v10, 0
	v_dual_mov_b32 v11, 0 :: v_dual_mov_b32 v8, 0
	s_delay_alu instid0(VALU_DEP_2)
	v_mov_b32_e32 v2, v10
	ds_load_b64 v[4:5], v6 offset:13880
	v_mov_b32_e32 v9, 0
	v_mov_b32_e32 v3, v11
	s_wait_dscnt 0x0
	v_xor_b32_e32 v5, 0x80000000, v5
	ds_store_b64 v218, v[13:14]
	ds_store_b64 v6, v[4:5] offset:13880
.LBB0_21:
	s_wait_alu 0xfffe
	s_or_b32 exec_lo, exec_lo, s0
	v_mov_b32_e32 v78, 0
	s_wait_dscnt 0x0
	s_delay_alu instid0(VALU_DEP_1) | instskip(SKIP_1) | instid1(VALU_DEP_1)
	v_lshlrev_b64_e32 v[4:5], 4, v[77:78]
	v_mov_b32_e32 v251, v78
	v_lshlrev_b64_e32 v[13:14], 4, v[250:251]
	s_delay_alu instid0(VALU_DEP_3) | instskip(SKIP_1) | instid1(VALU_DEP_4)
	v_add_co_u32 v4, s0, s4, v4
	s_wait_alu 0xf1ff
	v_add_co_ci_u32_e64 v5, s0, s5, v5, s0
	s_delay_alu instid0(VALU_DEP_3)
	v_add_co_u32 v13, s0, s4, v13
	global_load_b128 v[4:7], v[4:5], off offset:27472
	s_wait_alu 0xf1ff
	v_add_co_ci_u32_e64 v14, s0, s5, v14, s0
	s_add_nc_u64 s[0:1], s[4:5], 0x6b50
	global_load_b128 v[13:16], v[13:14], off offset:27472
	ds_store_b64 v218, v[10:11] offset:8
	ds_store_b128 v12, v[0:3] offset:27744
	ds_load_b128 v[17:20], v220
	ds_load_b128 v[21:24], v12 offset:26112
	s_wait_dscnt 0x0
	v_add_f64_e64 v[0:1], v[17:18], -v[21:22]
	v_add_f64_e32 v[25:26], v[19:20], v[23:24]
	v_add_f64_e64 v[19:20], v[19:20], -v[23:24]
	v_add_f64_e32 v[17:18], v[17:18], v[21:22]
	s_delay_alu instid0(VALU_DEP_4) | instskip(NEXT) | instid1(VALU_DEP_4)
	v_mul_f64_e32 v[23:24], 0.5, v[0:1]
	v_mul_f64_e32 v[25:26], 0.5, v[25:26]
	s_delay_alu instid0(VALU_DEP_4) | instskip(SKIP_2) | instid1(VALU_DEP_1)
	v_mul_f64_e32 v[19:20], 0.5, v[19:20]
	v_lshlrev_b64_e32 v[0:1], 4, v[8:9]
	s_wait_alu 0xfffe
	v_add_co_u32 v2, s0, s0, v0
	s_wait_alu 0xf1ff
	s_delay_alu instid0(VALU_DEP_2)
	v_add_co_ci_u32_e64 v3, s0, s1, v1, s0
	s_mov_b32 s1, exec_lo
	global_load_b128 v[8:11], v[2:3], off offset:11424
	s_wait_loadcnt 0x2
	v_mul_f64_e32 v[21:22], v[23:24], v[6:7]
	v_fma_f64 v[27:28], v[25:26], v[6:7], v[19:20]
	v_fma_f64 v[6:7], v[25:26], v[6:7], -v[19:20]
	s_delay_alu instid0(VALU_DEP_3) | instskip(SKIP_1) | instid1(VALU_DEP_4)
	v_fma_f64 v[29:30], v[17:18], 0.5, v[21:22]
	v_fma_f64 v[21:22], v[17:18], 0.5, -v[21:22]
	v_fma_f64 v[19:20], -v[4:5], v[23:24], v[27:28]
	s_delay_alu instid0(VALU_DEP_4) | instskip(NEXT) | instid1(VALU_DEP_4)
	v_fma_f64 v[6:7], -v[4:5], v[23:24], v[6:7]
	v_fma_f64 v[17:18], v[25:26], v[4:5], v[29:30]
	s_delay_alu instid0(VALU_DEP_4)
	v_fma_f64 v[4:5], -v[25:26], v[4:5], v[21:22]
	global_load_b128 v[21:24], v[2:3], off offset:4896
	ds_store_b128 v220, v[17:20]
	ds_store_b128 v12, v[4:7] offset:26112
	ds_load_b128 v[4:7], v219
	ds_load_b128 v[17:20], v12 offset:24480
	s_wait_dscnt 0x0
	v_add_f64_e64 v[25:26], v[4:5], -v[17:18]
	v_add_f64_e32 v[27:28], v[6:7], v[19:20]
	v_add_f64_e64 v[6:7], v[6:7], -v[19:20]
	v_add_f64_e32 v[4:5], v[4:5], v[17:18]
	s_delay_alu instid0(VALU_DEP_4) | instskip(NEXT) | instid1(VALU_DEP_4)
	v_mul_f64_e32 v[19:20], 0.5, v[25:26]
	v_mul_f64_e32 v[25:26], 0.5, v[27:28]
	s_delay_alu instid0(VALU_DEP_4) | instskip(SKIP_1) | instid1(VALU_DEP_3)
	v_mul_f64_e32 v[6:7], 0.5, v[6:7]
	s_wait_loadcnt 0x2
	v_mul_f64_e32 v[17:18], v[19:20], v[15:16]
	s_delay_alu instid0(VALU_DEP_2) | instskip(SKIP_1) | instid1(VALU_DEP_3)
	v_fma_f64 v[27:28], v[25:26], v[15:16], v[6:7]
	v_fma_f64 v[15:16], v[25:26], v[15:16], -v[6:7]
	v_fma_f64 v[29:30], v[4:5], 0.5, v[17:18]
	v_fma_f64 v[17:18], v[4:5], 0.5, -v[17:18]
	s_delay_alu instid0(VALU_DEP_4) | instskip(NEXT) | instid1(VALU_DEP_4)
	v_fma_f64 v[6:7], -v[13:14], v[19:20], v[27:28]
	v_fma_f64 v[15:16], -v[13:14], v[19:20], v[15:16]
	s_delay_alu instid0(VALU_DEP_4) | instskip(NEXT) | instid1(VALU_DEP_4)
	v_fma_f64 v[4:5], v[25:26], v[13:14], v[29:30]
	v_fma_f64 v[13:14], -v[25:26], v[13:14], v[17:18]
	global_load_b128 v[17:20], v[2:3], off offset:6528
	ds_store_b128 v219, v[4:7]
	ds_store_b128 v12, v[13:16] offset:24480
	ds_load_b128 v[4:7], v218 offset:4896
	ds_load_b128 v[13:16], v12 offset:22848
	s_wait_dscnt 0x0
	v_add_f64_e64 v[25:26], v[4:5], -v[13:14]
	v_add_f64_e32 v[27:28], v[6:7], v[15:16]
	v_add_f64_e64 v[6:7], v[6:7], -v[15:16]
	v_add_f64_e32 v[4:5], v[4:5], v[13:14]
	s_delay_alu instid0(VALU_DEP_4) | instskip(NEXT) | instid1(VALU_DEP_4)
	v_mul_f64_e32 v[15:16], 0.5, v[25:26]
	v_mul_f64_e32 v[25:26], 0.5, v[27:28]
	s_delay_alu instid0(VALU_DEP_4) | instskip(SKIP_1) | instid1(VALU_DEP_3)
	v_mul_f64_e32 v[6:7], 0.5, v[6:7]
	s_wait_loadcnt 0x1
	v_mul_f64_e32 v[13:14], v[15:16], v[23:24]
	s_delay_alu instid0(VALU_DEP_2) | instskip(SKIP_1) | instid1(VALU_DEP_3)
	v_fma_f64 v[27:28], v[25:26], v[23:24], v[6:7]
	v_fma_f64 v[23:24], v[25:26], v[23:24], -v[6:7]
	v_fma_f64 v[29:30], v[4:5], 0.5, v[13:14]
	v_fma_f64 v[13:14], v[4:5], 0.5, -v[13:14]
	s_delay_alu instid0(VALU_DEP_4) | instskip(NEXT) | instid1(VALU_DEP_4)
	v_fma_f64 v[6:7], -v[21:22], v[15:16], v[27:28]
	v_fma_f64 v[15:16], -v[21:22], v[15:16], v[23:24]
	s_delay_alu instid0(VALU_DEP_4) | instskip(NEXT) | instid1(VALU_DEP_4)
	v_fma_f64 v[4:5], v[25:26], v[21:22], v[29:30]
	v_fma_f64 v[13:14], -v[25:26], v[21:22], v[13:14]
	global_load_b128 v[21:24], v[2:3], off offset:8160
	ds_store_b128 v218, v[4:7] offset:4896
	ds_store_b128 v12, v[13:16] offset:22848
	ds_load_b128 v[4:7], v218 offset:6528
	ds_load_b128 v[13:16], v12 offset:21216
	s_wait_dscnt 0x0
	v_add_f64_e64 v[25:26], v[4:5], -v[13:14]
	v_add_f64_e32 v[27:28], v[6:7], v[15:16]
	v_add_f64_e64 v[6:7], v[6:7], -v[15:16]
	v_add_f64_e32 v[4:5], v[4:5], v[13:14]
	s_delay_alu instid0(VALU_DEP_4) | instskip(NEXT) | instid1(VALU_DEP_4)
	v_mul_f64_e32 v[15:16], 0.5, v[25:26]
	v_mul_f64_e32 v[25:26], 0.5, v[27:28]
	s_delay_alu instid0(VALU_DEP_4) | instskip(SKIP_1) | instid1(VALU_DEP_3)
	v_mul_f64_e32 v[6:7], 0.5, v[6:7]
	s_wait_loadcnt 0x1
	v_mul_f64_e32 v[13:14], v[15:16], v[19:20]
	s_delay_alu instid0(VALU_DEP_2) | instskip(SKIP_1) | instid1(VALU_DEP_3)
	v_fma_f64 v[27:28], v[25:26], v[19:20], v[6:7]
	v_fma_f64 v[19:20], v[25:26], v[19:20], -v[6:7]
	v_fma_f64 v[29:30], v[4:5], 0.5, v[13:14]
	v_fma_f64 v[13:14], v[4:5], 0.5, -v[13:14]
	s_delay_alu instid0(VALU_DEP_4) | instskip(NEXT) | instid1(VALU_DEP_4)
	v_fma_f64 v[6:7], -v[17:18], v[15:16], v[27:28]
	v_fma_f64 v[15:16], -v[17:18], v[15:16], v[19:20]
	s_delay_alu instid0(VALU_DEP_4) | instskip(NEXT) | instid1(VALU_DEP_4)
	v_fma_f64 v[4:5], v[25:26], v[17:18], v[29:30]
	v_fma_f64 v[13:14], -v[25:26], v[17:18], v[13:14]
	global_load_b128 v[17:20], v[2:3], off offset:9792
	ds_store_b128 v218, v[4:7] offset:6528
	ds_store_b128 v12, v[13:16] offset:21216
	ds_load_b128 v[4:7], v218 offset:8160
	ds_load_b128 v[13:16], v12 offset:19584
	s_wait_dscnt 0x0
	v_add_f64_e64 v[25:26], v[4:5], -v[13:14]
	v_add_f64_e32 v[27:28], v[6:7], v[15:16]
	v_add_f64_e64 v[6:7], v[6:7], -v[15:16]
	v_add_f64_e32 v[4:5], v[4:5], v[13:14]
	s_delay_alu instid0(VALU_DEP_4) | instskip(NEXT) | instid1(VALU_DEP_4)
	v_mul_f64_e32 v[15:16], 0.5, v[25:26]
	v_mul_f64_e32 v[25:26], 0.5, v[27:28]
	s_delay_alu instid0(VALU_DEP_4) | instskip(SKIP_1) | instid1(VALU_DEP_3)
	v_mul_f64_e32 v[6:7], 0.5, v[6:7]
	s_wait_loadcnt 0x1
	v_mul_f64_e32 v[13:14], v[15:16], v[23:24]
	s_delay_alu instid0(VALU_DEP_2) | instskip(SKIP_1) | instid1(VALU_DEP_3)
	v_fma_f64 v[27:28], v[25:26], v[23:24], v[6:7]
	v_fma_f64 v[23:24], v[25:26], v[23:24], -v[6:7]
	v_fma_f64 v[29:30], v[4:5], 0.5, v[13:14]
	v_fma_f64 v[13:14], v[4:5], 0.5, -v[13:14]
	s_delay_alu instid0(VALU_DEP_4) | instskip(NEXT) | instid1(VALU_DEP_4)
	v_fma_f64 v[6:7], -v[21:22], v[15:16], v[27:28]
	v_fma_f64 v[15:16], -v[21:22], v[15:16], v[23:24]
	s_delay_alu instid0(VALU_DEP_4) | instskip(NEXT) | instid1(VALU_DEP_4)
	v_fma_f64 v[4:5], v[25:26], v[21:22], v[29:30]
	v_fma_f64 v[13:14], -v[25:26], v[21:22], v[13:14]
	ds_store_b128 v218, v[4:7] offset:8160
	ds_store_b128 v12, v[13:16] offset:19584
	ds_load_b128 v[4:7], v218 offset:9792
	ds_load_b128 v[13:16], v12 offset:17952
	s_wait_dscnt 0x0
	v_add_f64_e64 v[21:22], v[4:5], -v[13:14]
	v_add_f64_e32 v[23:24], v[6:7], v[15:16]
	v_add_f64_e64 v[6:7], v[6:7], -v[15:16]
	v_add_f64_e32 v[4:5], v[4:5], v[13:14]
	s_delay_alu instid0(VALU_DEP_4) | instskip(NEXT) | instid1(VALU_DEP_4)
	v_mul_f64_e32 v[15:16], 0.5, v[21:22]
	v_mul_f64_e32 v[21:22], 0.5, v[23:24]
	s_delay_alu instid0(VALU_DEP_4) | instskip(SKIP_1) | instid1(VALU_DEP_3)
	v_mul_f64_e32 v[6:7], 0.5, v[6:7]
	s_wait_loadcnt 0x0
	v_mul_f64_e32 v[13:14], v[15:16], v[19:20]
	s_delay_alu instid0(VALU_DEP_2) | instskip(SKIP_1) | instid1(VALU_DEP_3)
	v_fma_f64 v[23:24], v[21:22], v[19:20], v[6:7]
	v_fma_f64 v[19:20], v[21:22], v[19:20], -v[6:7]
	v_fma_f64 v[25:26], v[4:5], 0.5, v[13:14]
	v_fma_f64 v[13:14], v[4:5], 0.5, -v[13:14]
	s_delay_alu instid0(VALU_DEP_4) | instskip(NEXT) | instid1(VALU_DEP_4)
	v_fma_f64 v[6:7], -v[17:18], v[15:16], v[23:24]
	v_fma_f64 v[15:16], -v[17:18], v[15:16], v[19:20]
	s_delay_alu instid0(VALU_DEP_4) | instskip(NEXT) | instid1(VALU_DEP_4)
	v_fma_f64 v[4:5], v[21:22], v[17:18], v[25:26]
	v_fma_f64 v[13:14], -v[21:22], v[17:18], v[13:14]
	ds_store_b128 v218, v[4:7] offset:9792
	ds_store_b128 v12, v[13:16] offset:17952
	ds_load_b128 v[4:7], v218 offset:11424
	ds_load_b128 v[13:16], v12 offset:16320
	s_wait_dscnt 0x0
	v_add_f64_e64 v[17:18], v[4:5], -v[13:14]
	v_add_f64_e32 v[19:20], v[6:7], v[15:16]
	v_add_f64_e64 v[6:7], v[6:7], -v[15:16]
	v_add_f64_e32 v[4:5], v[4:5], v[13:14]
	s_delay_alu instid0(VALU_DEP_4) | instskip(NEXT) | instid1(VALU_DEP_4)
	v_mul_f64_e32 v[15:16], 0.5, v[17:18]
	v_mul_f64_e32 v[17:18], 0.5, v[19:20]
	s_delay_alu instid0(VALU_DEP_4) | instskip(NEXT) | instid1(VALU_DEP_3)
	v_mul_f64_e32 v[6:7], 0.5, v[6:7]
	v_mul_f64_e32 v[13:14], v[15:16], v[10:11]
	s_delay_alu instid0(VALU_DEP_2) | instskip(SKIP_1) | instid1(VALU_DEP_3)
	v_fma_f64 v[19:20], v[17:18], v[10:11], v[6:7]
	v_fma_f64 v[10:11], v[17:18], v[10:11], -v[6:7]
	v_fma_f64 v[21:22], v[4:5], 0.5, v[13:14]
	v_fma_f64 v[13:14], v[4:5], 0.5, -v[13:14]
	s_delay_alu instid0(VALU_DEP_4) | instskip(NEXT) | instid1(VALU_DEP_4)
	v_fma_f64 v[6:7], -v[8:9], v[15:16], v[19:20]
	v_fma_f64 v[10:11], -v[8:9], v[15:16], v[10:11]
	s_delay_alu instid0(VALU_DEP_4) | instskip(NEXT) | instid1(VALU_DEP_4)
	v_fma_f64 v[4:5], v[17:18], v[8:9], v[21:22]
	v_fma_f64 v[8:9], -v[17:18], v[8:9], v[13:14]
	ds_store_b128 v218, v[4:7] offset:11424
	ds_store_b128 v12, v[8:11] offset:16320
	v_cmpx_gt_u32_e32 51, v72
	s_cbranch_execz .LBB0_23
; %bb.22:
	global_load_b128 v[2:5], v[2:3], off offset:13056
	ds_load_b128 v[6:9], v218 offset:13056
	ds_load_b128 v[13:16], v12 offset:14688
	s_wait_dscnt 0x0
	v_add_f64_e64 v[10:11], v[6:7], -v[13:14]
	v_add_f64_e32 v[17:18], v[8:9], v[15:16]
	v_add_f64_e64 v[8:9], v[8:9], -v[15:16]
	v_add_f64_e32 v[6:7], v[6:7], v[13:14]
	s_delay_alu instid0(VALU_DEP_4) | instskip(NEXT) | instid1(VALU_DEP_4)
	v_mul_f64_e32 v[10:11], 0.5, v[10:11]
	v_mul_f64_e32 v[15:16], 0.5, v[17:18]
	s_delay_alu instid0(VALU_DEP_4) | instskip(SKIP_1) | instid1(VALU_DEP_3)
	v_mul_f64_e32 v[8:9], 0.5, v[8:9]
	s_wait_loadcnt 0x0
	v_mul_f64_e32 v[13:14], v[10:11], v[4:5]
	s_delay_alu instid0(VALU_DEP_2) | instskip(SKIP_1) | instid1(VALU_DEP_3)
	v_fma_f64 v[17:18], v[15:16], v[4:5], v[8:9]
	v_fma_f64 v[4:5], v[15:16], v[4:5], -v[8:9]
	v_fma_f64 v[8:9], v[6:7], 0.5, v[13:14]
	v_fma_f64 v[13:14], v[6:7], 0.5, -v[13:14]
	s_delay_alu instid0(VALU_DEP_4) | instskip(NEXT) | instid1(VALU_DEP_4)
	v_fma_f64 v[6:7], -v[2:3], v[10:11], v[17:18]
	v_fma_f64 v[10:11], -v[2:3], v[10:11], v[4:5]
	s_delay_alu instid0(VALU_DEP_4) | instskip(NEXT) | instid1(VALU_DEP_4)
	v_fma_f64 v[4:5], v[15:16], v[2:3], v[8:9]
	v_fma_f64 v[8:9], -v[15:16], v[2:3], v[13:14]
	ds_store_b128 v218, v[4:7] offset:13056
	ds_store_b128 v12, v[8:11] offset:14688
.LBB0_23:
	s_wait_alu 0xfffe
	s_or_b32 exec_lo, exec_lo, s1
	global_wb scope:SCOPE_SE
	s_wait_dscnt 0x0
	s_barrier_signal -1
	s_barrier_wait -1
	global_inv scope:SCOPE_SE
	s_and_saveexec_b32 s0, vcc_lo
	s_cbranch_execz .LBB0_26
; %bb.24:
	scratch_load_b64 v[2:3], off, off th:TH_LOAD_LU ; 8-byte Folded Reload
	ds_load_b128 v[4:7], v218
	ds_load_b128 v[8:11], v218 offset:1632
	ds_load_b128 v[12:15], v218 offset:3264
	;; [unrolled: 1-line block ×16, first 2 shown]
	s_wait_loadcnt 0x0
	v_add_co_u32 v2, vcc_lo, s8, v2
	s_wait_alu 0xfffd
	v_add_co_ci_u32_e32 v3, vcc_lo, s9, v3, vcc_lo
	s_delay_alu instid0(VALU_DEP_2) | instskip(SKIP_1) | instid1(VALU_DEP_2)
	v_add_co_u32 v0, vcc_lo, v2, v0
	s_wait_alu 0xfffd
	v_add_co_ci_u32_e32 v1, vcc_lo, v3, v1, vcc_lo
	v_cmp_eq_u32_e32 vcc_lo, 0x65, v72
	s_wait_dscnt 0x10
	global_store_b128 v[0:1], v[4:7], off
	s_wait_dscnt 0xf
	global_store_b128 v[0:1], v[8:11], off offset:1632
	s_wait_dscnt 0xe
	global_store_b128 v[0:1], v[12:15], off offset:3264
	s_wait_dscnt 0xd
	global_store_b128 v[0:1], v[16:19], off offset:4896
	s_wait_dscnt 0xc
	global_store_b128 v[0:1], v[20:23], off offset:6528
	s_wait_dscnt 0xb
	global_store_b128 v[0:1], v[24:27], off offset:8160
	s_wait_dscnt 0xa
	global_store_b128 v[0:1], v[28:31], off offset:9792
	s_wait_dscnt 0x9
	global_store_b128 v[0:1], v[32:35], off offset:11424
	s_wait_dscnt 0x8
	global_store_b128 v[0:1], v[36:39], off offset:13056
	s_wait_dscnt 0x7
	global_store_b128 v[0:1], v[40:43], off offset:14688
	s_wait_dscnt 0x6
	global_store_b128 v[0:1], v[44:47], off offset:16320
	s_wait_dscnt 0x5
	global_store_b128 v[0:1], v[48:51], off offset:17952
	s_wait_dscnt 0x4
	global_store_b128 v[0:1], v[52:55], off offset:19584
	s_wait_dscnt 0x3
	global_store_b128 v[0:1], v[56:59], off offset:21216
	s_wait_dscnt 0x2
	global_store_b128 v[0:1], v[60:63], off offset:22848
	s_wait_dscnt 0x1
	global_store_b128 v[0:1], v[64:67], off offset:24480
	s_wait_dscnt 0x0
	global_store_b128 v[0:1], v[68:71], off offset:26112
	s_and_b32 exec_lo, exec_lo, vcc_lo
	s_cbranch_execz .LBB0_26
; %bb.25:
	v_mov_b32_e32 v0, 0
	ds_load_b128 v[4:7], v0 offset:27744
	s_wait_dscnt 0x0
	global_store_b128 v[2:3], v[4:7], off offset:27744
.LBB0_26:
	s_nop 0
	s_sendmsg sendmsg(MSG_DEALLOC_VGPRS)
	s_endpgm
	.section	.rodata,"a",@progbits
	.p2align	6, 0x0
	.amdhsa_kernel fft_rtc_fwd_len1734_factors_17_17_6_wgs_102_tpt_102_halfLds_dp_ip_CI_unitstride_sbrr_R2C_dirReg
		.amdhsa_group_segment_fixed_size 0
		.amdhsa_private_segment_fixed_size 76
		.amdhsa_kernarg_size 88
		.amdhsa_user_sgpr_count 2
		.amdhsa_user_sgpr_dispatch_ptr 0
		.amdhsa_user_sgpr_queue_ptr 0
		.amdhsa_user_sgpr_kernarg_segment_ptr 1
		.amdhsa_user_sgpr_dispatch_id 0
		.amdhsa_user_sgpr_private_segment_size 0
		.amdhsa_wavefront_size32 1
		.amdhsa_uses_dynamic_stack 0
		.amdhsa_enable_private_segment 1
		.amdhsa_system_sgpr_workgroup_id_x 1
		.amdhsa_system_sgpr_workgroup_id_y 0
		.amdhsa_system_sgpr_workgroup_id_z 0
		.amdhsa_system_sgpr_workgroup_info 0
		.amdhsa_system_vgpr_workitem_id 0
		.amdhsa_next_free_vgpr 255
		.amdhsa_next_free_sgpr 54
		.amdhsa_reserve_vcc 1
		.amdhsa_float_round_mode_32 0
		.amdhsa_float_round_mode_16_64 0
		.amdhsa_float_denorm_mode_32 3
		.amdhsa_float_denorm_mode_16_64 3
		.amdhsa_fp16_overflow 0
		.amdhsa_workgroup_processor_mode 1
		.amdhsa_memory_ordered 1
		.amdhsa_forward_progress 0
		.amdhsa_round_robin_scheduling 0
		.amdhsa_exception_fp_ieee_invalid_op 0
		.amdhsa_exception_fp_denorm_src 0
		.amdhsa_exception_fp_ieee_div_zero 0
		.amdhsa_exception_fp_ieee_overflow 0
		.amdhsa_exception_fp_ieee_underflow 0
		.amdhsa_exception_fp_ieee_inexact 0
		.amdhsa_exception_int_div_zero 0
	.end_amdhsa_kernel
	.text
.Lfunc_end0:
	.size	fft_rtc_fwd_len1734_factors_17_17_6_wgs_102_tpt_102_halfLds_dp_ip_CI_unitstride_sbrr_R2C_dirReg, .Lfunc_end0-fft_rtc_fwd_len1734_factors_17_17_6_wgs_102_tpt_102_halfLds_dp_ip_CI_unitstride_sbrr_R2C_dirReg
                                        ; -- End function
	.section	.AMDGPU.csdata,"",@progbits
; Kernel info:
; codeLenInByte = 17476
; NumSgprs: 56
; NumVgprs: 255
; ScratchSize: 76
; MemoryBound: 0
; FloatMode: 240
; IeeeMode: 1
; LDSByteSize: 0 bytes/workgroup (compile time only)
; SGPRBlocks: 6
; VGPRBlocks: 31
; NumSGPRsForWavesPerEU: 56
; NumVGPRsForWavesPerEU: 255
; Occupancy: 5
; WaveLimiterHint : 1
; COMPUTE_PGM_RSRC2:SCRATCH_EN: 1
; COMPUTE_PGM_RSRC2:USER_SGPR: 2
; COMPUTE_PGM_RSRC2:TRAP_HANDLER: 0
; COMPUTE_PGM_RSRC2:TGID_X_EN: 1
; COMPUTE_PGM_RSRC2:TGID_Y_EN: 0
; COMPUTE_PGM_RSRC2:TGID_Z_EN: 0
; COMPUTE_PGM_RSRC2:TIDIG_COMP_CNT: 0
	.text
	.p2alignl 7, 3214868480
	.fill 96, 4, 3214868480
	.type	__hip_cuid_e73d0c71fca93f2e,@object ; @__hip_cuid_e73d0c71fca93f2e
	.section	.bss,"aw",@nobits
	.globl	__hip_cuid_e73d0c71fca93f2e
__hip_cuid_e73d0c71fca93f2e:
	.byte	0                               ; 0x0
	.size	__hip_cuid_e73d0c71fca93f2e, 1

	.ident	"AMD clang version 19.0.0git (https://github.com/RadeonOpenCompute/llvm-project roc-6.4.0 25133 c7fe45cf4b819c5991fe208aaa96edf142730f1d)"
	.section	".note.GNU-stack","",@progbits
	.addrsig
	.addrsig_sym __hip_cuid_e73d0c71fca93f2e
	.amdgpu_metadata
---
amdhsa.kernels:
  - .args:
      - .actual_access:  read_only
        .address_space:  global
        .offset:         0
        .size:           8
        .value_kind:     global_buffer
      - .offset:         8
        .size:           8
        .value_kind:     by_value
      - .actual_access:  read_only
        .address_space:  global
        .offset:         16
        .size:           8
        .value_kind:     global_buffer
      - .actual_access:  read_only
        .address_space:  global
        .offset:         24
        .size:           8
        .value_kind:     global_buffer
      - .offset:         32
        .size:           8
        .value_kind:     by_value
      - .actual_access:  read_only
        .address_space:  global
        .offset:         40
        .size:           8
        .value_kind:     global_buffer
      - .actual_access:  read_only
        .address_space:  global
        .offset:         48
        .size:           8
        .value_kind:     global_buffer
      - .offset:         56
        .size:           4
        .value_kind:     by_value
      - .actual_access:  read_only
        .address_space:  global
        .offset:         64
        .size:           8
        .value_kind:     global_buffer
      - .actual_access:  read_only
        .address_space:  global
        .offset:         72
        .size:           8
        .value_kind:     global_buffer
      - .address_space:  global
        .offset:         80
        .size:           8
        .value_kind:     global_buffer
    .group_segment_fixed_size: 0
    .kernarg_segment_align: 8
    .kernarg_segment_size: 88
    .language:       OpenCL C
    .language_version:
      - 2
      - 0
    .max_flat_workgroup_size: 102
    .name:           fft_rtc_fwd_len1734_factors_17_17_6_wgs_102_tpt_102_halfLds_dp_ip_CI_unitstride_sbrr_R2C_dirReg
    .private_segment_fixed_size: 76
    .sgpr_count:     56
    .sgpr_spill_count: 0
    .symbol:         fft_rtc_fwd_len1734_factors_17_17_6_wgs_102_tpt_102_halfLds_dp_ip_CI_unitstride_sbrr_R2C_dirReg.kd
    .uniform_work_group_size: 1
    .uses_dynamic_stack: false
    .vgpr_count:     255
    .vgpr_spill_count: 18
    .wavefront_size: 32
    .workgroup_processor_mode: 1
amdhsa.target:   amdgcn-amd-amdhsa--gfx1201
amdhsa.version:
  - 1
  - 2
...

	.end_amdgpu_metadata
